;; amdgpu-corpus repo=ROCm/rocFFT kind=compiled arch=gfx906 opt=O3
	.text
	.amdgcn_target "amdgcn-amd-amdhsa--gfx906"
	.amdhsa_code_object_version 6
	.protected	fft_rtc_fwd_len3456_factors_6_6_6_4_4_wgs_144_tpt_144_halfLds_sp_ip_CI_unitstride_sbrr_C2R_dirReg ; -- Begin function fft_rtc_fwd_len3456_factors_6_6_6_4_4_wgs_144_tpt_144_halfLds_sp_ip_CI_unitstride_sbrr_C2R_dirReg
	.globl	fft_rtc_fwd_len3456_factors_6_6_6_4_4_wgs_144_tpt_144_halfLds_sp_ip_CI_unitstride_sbrr_C2R_dirReg
	.p2align	8
	.type	fft_rtc_fwd_len3456_factors_6_6_6_4_4_wgs_144_tpt_144_halfLds_sp_ip_CI_unitstride_sbrr_C2R_dirReg,@function
fft_rtc_fwd_len3456_factors_6_6_6_4_4_wgs_144_tpt_144_halfLds_sp_ip_CI_unitstride_sbrr_C2R_dirReg: ; @fft_rtc_fwd_len3456_factors_6_6_6_4_4_wgs_144_tpt_144_halfLds_sp_ip_CI_unitstride_sbrr_C2R_dirReg
; %bb.0:
	s_load_dwordx2 s[2:3], s[4:5], 0x50
	s_load_dwordx4 s[8:11], s[4:5], 0x0
	s_load_dwordx2 s[12:13], s[4:5], 0x18
	v_mul_u32_u24_e32 v1, 0x1c8, v0
	v_add_u32_sdwa v5, s6, v1 dst_sel:DWORD dst_unused:UNUSED_PAD src0_sel:DWORD src1_sel:WORD_1
	v_mov_b32_e32 v3, 0
	s_waitcnt lgkmcnt(0)
	v_cmp_lt_u64_e64 s[0:1], s[10:11], 2
	v_mov_b32_e32 v1, 0
	v_mov_b32_e32 v6, v3
	s_and_b64 vcc, exec, s[0:1]
	v_mov_b32_e32 v2, 0
	s_cbranch_vccnz .LBB0_8
; %bb.1:
	s_load_dwordx2 s[0:1], s[4:5], 0x10
	s_add_u32 s6, s12, 8
	s_addc_u32 s7, s13, 0
	v_mov_b32_e32 v1, 0
	v_mov_b32_e32 v2, 0
	s_waitcnt lgkmcnt(0)
	s_add_u32 s14, s0, 8
	s_addc_u32 s15, s1, 0
	s_mov_b64 s[16:17], 1
.LBB0_2:                                ; =>This Inner Loop Header: Depth=1
	s_load_dwordx2 s[18:19], s[14:15], 0x0
                                        ; implicit-def: $vgpr7_vgpr8
	s_waitcnt lgkmcnt(0)
	v_or_b32_e32 v4, s19, v6
	v_cmp_ne_u64_e32 vcc, 0, v[3:4]
	s_and_saveexec_b64 s[0:1], vcc
	s_xor_b64 s[20:21], exec, s[0:1]
	s_cbranch_execz .LBB0_4
; %bb.3:                                ;   in Loop: Header=BB0_2 Depth=1
	v_cvt_f32_u32_e32 v4, s18
	v_cvt_f32_u32_e32 v7, s19
	s_sub_u32 s0, 0, s18
	s_subb_u32 s1, 0, s19
	v_mac_f32_e32 v4, 0x4f800000, v7
	v_rcp_f32_e32 v4, v4
	v_mul_f32_e32 v4, 0x5f7ffffc, v4
	v_mul_f32_e32 v7, 0x2f800000, v4
	v_trunc_f32_e32 v7, v7
	v_mac_f32_e32 v4, 0xcf800000, v7
	v_cvt_u32_f32_e32 v7, v7
	v_cvt_u32_f32_e32 v4, v4
	v_mul_lo_u32 v8, s0, v7
	v_mul_hi_u32 v9, s0, v4
	v_mul_lo_u32 v11, s1, v4
	v_mul_lo_u32 v10, s0, v4
	v_add_u32_e32 v8, v9, v8
	v_add_u32_e32 v8, v8, v11
	v_mul_hi_u32 v9, v4, v10
	v_mul_lo_u32 v11, v4, v8
	v_mul_hi_u32 v13, v4, v8
	v_mul_hi_u32 v12, v7, v10
	v_mul_lo_u32 v10, v7, v10
	v_mul_hi_u32 v14, v7, v8
	v_add_co_u32_e32 v9, vcc, v9, v11
	v_addc_co_u32_e32 v11, vcc, 0, v13, vcc
	v_mul_lo_u32 v8, v7, v8
	v_add_co_u32_e32 v9, vcc, v9, v10
	v_addc_co_u32_e32 v9, vcc, v11, v12, vcc
	v_addc_co_u32_e32 v10, vcc, 0, v14, vcc
	v_add_co_u32_e32 v8, vcc, v9, v8
	v_addc_co_u32_e32 v9, vcc, 0, v10, vcc
	v_add_co_u32_e32 v4, vcc, v4, v8
	v_addc_co_u32_e32 v7, vcc, v7, v9, vcc
	v_mul_lo_u32 v8, s0, v7
	v_mul_hi_u32 v9, s0, v4
	v_mul_lo_u32 v10, s1, v4
	v_mul_lo_u32 v11, s0, v4
	v_add_u32_e32 v8, v9, v8
	v_add_u32_e32 v8, v8, v10
	v_mul_lo_u32 v12, v4, v8
	v_mul_hi_u32 v13, v4, v11
	v_mul_hi_u32 v14, v4, v8
	;; [unrolled: 1-line block ×3, first 2 shown]
	v_mul_lo_u32 v11, v7, v11
	v_mul_hi_u32 v9, v7, v8
	v_add_co_u32_e32 v12, vcc, v13, v12
	v_addc_co_u32_e32 v13, vcc, 0, v14, vcc
	v_mul_lo_u32 v8, v7, v8
	v_add_co_u32_e32 v11, vcc, v12, v11
	v_addc_co_u32_e32 v10, vcc, v13, v10, vcc
	v_addc_co_u32_e32 v9, vcc, 0, v9, vcc
	v_add_co_u32_e32 v8, vcc, v10, v8
	v_addc_co_u32_e32 v9, vcc, 0, v9, vcc
	v_add_co_u32_e32 v4, vcc, v4, v8
	v_addc_co_u32_e32 v9, vcc, v7, v9, vcc
	v_mad_u64_u32 v[7:8], s[0:1], v5, v9, 0
	v_mul_hi_u32 v10, v5, v4
	v_add_co_u32_e32 v11, vcc, v10, v7
	v_addc_co_u32_e32 v12, vcc, 0, v8, vcc
	v_mad_u64_u32 v[7:8], s[0:1], v6, v4, 0
	v_mad_u64_u32 v[9:10], s[0:1], v6, v9, 0
	v_add_co_u32_e32 v4, vcc, v11, v7
	v_addc_co_u32_e32 v4, vcc, v12, v8, vcc
	v_addc_co_u32_e32 v7, vcc, 0, v10, vcc
	v_add_co_u32_e32 v4, vcc, v4, v9
	v_addc_co_u32_e32 v9, vcc, 0, v7, vcc
	v_mul_lo_u32 v10, s19, v4
	v_mul_lo_u32 v11, s18, v9
	v_mad_u64_u32 v[7:8], s[0:1], s18, v4, 0
	v_add3_u32 v8, v8, v11, v10
	v_sub_u32_e32 v10, v6, v8
	v_mov_b32_e32 v11, s19
	v_sub_co_u32_e32 v7, vcc, v5, v7
	v_subb_co_u32_e64 v10, s[0:1], v10, v11, vcc
	v_subrev_co_u32_e64 v11, s[0:1], s18, v7
	v_subbrev_co_u32_e64 v10, s[0:1], 0, v10, s[0:1]
	v_cmp_le_u32_e64 s[0:1], s19, v10
	v_cndmask_b32_e64 v12, 0, -1, s[0:1]
	v_cmp_le_u32_e64 s[0:1], s18, v11
	v_cndmask_b32_e64 v11, 0, -1, s[0:1]
	v_cmp_eq_u32_e64 s[0:1], s19, v10
	v_cndmask_b32_e64 v10, v12, v11, s[0:1]
	v_add_co_u32_e64 v11, s[0:1], 2, v4
	v_addc_co_u32_e64 v12, s[0:1], 0, v9, s[0:1]
	v_add_co_u32_e64 v13, s[0:1], 1, v4
	v_addc_co_u32_e64 v14, s[0:1], 0, v9, s[0:1]
	v_subb_co_u32_e32 v8, vcc, v6, v8, vcc
	v_cmp_ne_u32_e64 s[0:1], 0, v10
	v_cmp_le_u32_e32 vcc, s19, v8
	v_cndmask_b32_e64 v10, v14, v12, s[0:1]
	v_cndmask_b32_e64 v12, 0, -1, vcc
	v_cmp_le_u32_e32 vcc, s18, v7
	v_cndmask_b32_e64 v7, 0, -1, vcc
	v_cmp_eq_u32_e32 vcc, s19, v8
	v_cndmask_b32_e32 v7, v12, v7, vcc
	v_cmp_ne_u32_e32 vcc, 0, v7
	v_cndmask_b32_e64 v7, v13, v11, s[0:1]
	v_cndmask_b32_e32 v8, v9, v10, vcc
	v_cndmask_b32_e32 v7, v4, v7, vcc
.LBB0_4:                                ;   in Loop: Header=BB0_2 Depth=1
	s_andn2_saveexec_b64 s[0:1], s[20:21]
	s_cbranch_execz .LBB0_6
; %bb.5:                                ;   in Loop: Header=BB0_2 Depth=1
	v_cvt_f32_u32_e32 v4, s18
	s_sub_i32 s20, 0, s18
	v_rcp_iflag_f32_e32 v4, v4
	v_mul_f32_e32 v4, 0x4f7ffffe, v4
	v_cvt_u32_f32_e32 v4, v4
	v_mul_lo_u32 v7, s20, v4
	v_mul_hi_u32 v7, v4, v7
	v_add_u32_e32 v4, v4, v7
	v_mul_hi_u32 v4, v5, v4
	v_mul_lo_u32 v7, v4, s18
	v_add_u32_e32 v8, 1, v4
	v_sub_u32_e32 v7, v5, v7
	v_subrev_u32_e32 v9, s18, v7
	v_cmp_le_u32_e32 vcc, s18, v7
	v_cndmask_b32_e32 v7, v7, v9, vcc
	v_cndmask_b32_e32 v4, v4, v8, vcc
	v_add_u32_e32 v8, 1, v4
	v_cmp_le_u32_e32 vcc, s18, v7
	v_cndmask_b32_e32 v7, v4, v8, vcc
	v_mov_b32_e32 v8, v3
.LBB0_6:                                ;   in Loop: Header=BB0_2 Depth=1
	s_or_b64 exec, exec, s[0:1]
	v_mul_lo_u32 v4, v8, s18
	v_mul_lo_u32 v11, v7, s19
	v_mad_u64_u32 v[9:10], s[0:1], v7, s18, 0
	s_load_dwordx2 s[0:1], s[6:7], 0x0
	s_add_u32 s16, s16, 1
	v_add3_u32 v4, v10, v11, v4
	v_sub_co_u32_e32 v5, vcc, v5, v9
	v_subb_co_u32_e32 v4, vcc, v6, v4, vcc
	s_waitcnt lgkmcnt(0)
	v_mul_lo_u32 v4, s0, v4
	v_mul_lo_u32 v6, s1, v5
	v_mad_u64_u32 v[1:2], s[0:1], s0, v5, v[1:2]
	s_addc_u32 s17, s17, 0
	s_add_u32 s6, s6, 8
	v_add3_u32 v2, v6, v2, v4
	v_mov_b32_e32 v4, s10
	v_mov_b32_e32 v5, s11
	s_addc_u32 s7, s7, 0
	v_cmp_ge_u64_e32 vcc, s[16:17], v[4:5]
	s_add_u32 s14, s14, 8
	s_addc_u32 s15, s15, 0
	s_cbranch_vccnz .LBB0_9
; %bb.7:                                ;   in Loop: Header=BB0_2 Depth=1
	v_mov_b32_e32 v5, v7
	v_mov_b32_e32 v6, v8
	s_branch .LBB0_2
.LBB0_8:
	v_mov_b32_e32 v8, v6
	v_mov_b32_e32 v7, v5
.LBB0_9:
	s_lshl_b64 s[0:1], s[10:11], 3
	s_add_u32 s0, s12, s0
	s_addc_u32 s1, s13, s1
	s_load_dwordx2 s[6:7], s[0:1], 0x0
	s_load_dwordx2 s[10:11], s[4:5], 0x20
	s_waitcnt lgkmcnt(0)
	v_mad_u64_u32 v[1:2], s[0:1], s6, v7, v[1:2]
	v_mul_lo_u32 v3, s6, v8
	v_mul_lo_u32 v4, s7, v7
	s_mov_b32 s0, 0x1c71c72
	v_mul_hi_u32 v5, v0, s0
	v_cmp_gt_u64_e64 s[0:1], s[10:11], v[7:8]
	v_add3_u32 v2, v4, v2, v3
	v_lshlrev_b64 v[14:15], 3, v[1:2]
	v_mul_u32_u24_e32 v3, 0x90, v5
	v_sub_u32_e32 v12, v0, v3
	s_and_saveexec_b64 s[4:5], s[0:1]
	s_cbranch_execz .LBB0_13
; %bb.10:
	v_mov_b32_e32 v13, 0
	v_mov_b32_e32 v0, s3
	v_add_co_u32_e32 v1, vcc, s2, v14
	v_lshlrev_b64 v[2:3], 3, v[12:13]
	v_addc_co_u32_e32 v0, vcc, v0, v15, vcc
	v_add_co_u32_e32 v2, vcc, v1, v2
	v_addc_co_u32_e32 v3, vcc, v0, v3, vcc
	s_movk_i32 s6, 0x1000
	v_add_co_u32_e32 v16, vcc, s6, v2
	v_addc_co_u32_e32 v17, vcc, 0, v3, vcc
	s_movk_i32 s6, 0x2000
	global_load_dwordx2 v[4:5], v[2:3], off
	global_load_dwordx2 v[6:7], v[2:3], off offset:1152
	global_load_dwordx2 v[8:9], v[2:3], off offset:2304
	;; [unrolled: 1-line block ×7, first 2 shown]
	v_add_co_u32_e32 v16, vcc, s6, v2
	v_addc_co_u32_e32 v17, vcc, 0, v3, vcc
	s_movk_i32 s6, 0x3000
	v_add_co_u32_e32 v26, vcc, s6, v2
	v_addc_co_u32_e32 v27, vcc, 0, v3, vcc
	s_movk_i32 s6, 0x4000
	global_load_dwordx2 v[28:29], v[16:17], off offset:1024
	global_load_dwordx2 v[30:31], v[16:17], off offset:2176
	;; [unrolled: 1-line block ×4, first 2 shown]
	v_add_co_u32_e32 v16, vcc, s6, v2
	v_addc_co_u32_e32 v17, vcc, 0, v3, vcc
	global_load_dwordx2 v[36:37], v[26:27], off offset:1536
	global_load_dwordx2 v[38:39], v[26:27], off offset:2688
	global_load_dwordx2 v[40:41], v[26:27], off offset:3840
	global_load_dwordx2 v[42:43], v[16:17], off offset:896
	v_or_b32_e32 v26, 0x900, v12
	v_mov_b32_e32 v27, v13
	v_lshlrev_b64 v[26:27], 3, v[26:27]
	s_movk_i32 s6, 0x5000
	v_add_co_u32_e32 v26, vcc, v1, v26
	v_addc_co_u32_e32 v27, vcc, v0, v27, vcc
	v_add_co_u32_e32 v44, vcc, s6, v2
	v_addc_co_u32_e32 v45, vcc, 0, v3, vcc
	global_load_dwordx2 v[46:47], v[44:45], off offset:1408
	global_load_dwordx2 v[48:49], v[44:45], off offset:256
	global_load_dwordx2 v[50:51], v[26:27], off
	global_load_dwordx2 v[52:53], v[16:17], off offset:3200
	v_add_co_u32_e32 v2, vcc, 0x6000, v2
	v_addc_co_u32_e32 v3, vcc, 0, v3, vcc
	global_load_dwordx2 v[16:17], v[44:45], off offset:2560
	global_load_dwordx2 v[26:27], v[44:45], off offset:3712
	;; [unrolled: 1-line block ×4, first 2 shown]
	v_lshl_add_u32 v2, v12, 3, 0
	v_add_u32_e32 v3, 0x800, v2
	v_add_u32_e32 v44, 0x1000, v2
	;; [unrolled: 1-line block ×6, first 2 shown]
	s_movk_i32 s6, 0x8f
	v_cmp_eq_u32_e32 vcc, s6, v12
	s_waitcnt vmcnt(22)
	ds_write2_b64 v2, v[4:5], v[6:7] offset1:144
	s_waitcnt vmcnt(20)
	ds_write2_b64 v3, v[8:9], v[10:11] offset0:32 offset1:176
	s_waitcnt vmcnt(18)
	ds_write2_b64 v44, v[18:19], v[20:21] offset0:64 offset1:208
	s_waitcnt vmcnt(16)
	ds_write2_b64 v45, v[22:23], v[24:25] offset0:96 offset1:240
	s_waitcnt vmcnt(14)
	ds_write2_b64 v58, v[28:29], v[30:31] offset1:144
	s_waitcnt vmcnt(12)
	ds_write2_b64 v59, v[32:33], v[34:35] offset0:32 offset1:176
	s_waitcnt vmcnt(10)
	ds_write2_b64 v60, v[36:37], v[38:39] offset0:64 offset1:208
	v_add_u32_e32 v3, 0x3c00, v2
	s_waitcnt vmcnt(8)
	ds_write2_b64 v3, v[40:41], v[42:43] offset0:96 offset1:240
	v_add_u32_e32 v3, 0x4800, v2
	s_waitcnt vmcnt(4)
	ds_write2_b64 v3, v[50:51], v[52:53] offset1:144
	v_add_u32_e32 v3, 0x5000, v2
	ds_write2_b64 v3, v[48:49], v[46:47] offset0:32 offset1:176
	v_add_u32_e32 v3, 0x5800, v2
	v_add_u32_e32 v2, 0x6000, v2
	s_waitcnt vmcnt(2)
	ds_write2_b64 v3, v[16:17], v[26:27] offset0:64 offset1:208
	s_waitcnt vmcnt(0)
	ds_write2_b64 v2, v[54:55], v[56:57] offset0:96 offset1:240
	s_and_saveexec_b64 s[6:7], vcc
	s_cbranch_execz .LBB0_12
; %bb.11:
	v_add_co_u32_e32 v1, vcc, 0x6000, v1
	v_addc_co_u32_e32 v2, vcc, 0, v0, vcc
	global_load_dwordx2 v[0:1], v[1:2], off offset:3072
	v_mov_b32_e32 v12, 0x8f
	s_waitcnt vmcnt(0)
	ds_write_b64 v13, v[0:1] offset:27648
.LBB0_12:
	s_or_b64 exec, exec, s[6:7]
.LBB0_13:
	s_or_b64 exec, exec, s[4:5]
	v_lshlrev_b32_e32 v0, 3, v12
	v_add_u32_e32 v16, 0, v0
	s_waitcnt lgkmcnt(0)
	s_barrier
	v_sub_u32_e32 v4, 0, v0
	ds_read_b32 v5, v16
	ds_read_b32 v6, v4 offset:27648
	s_add_u32 s6, s8, 0x6bd0
	s_addc_u32 s7, s9, 0
	v_cmp_ne_u32_e32 vcc, 0, v12
                                        ; implicit-def: $vgpr2_vgpr3
	s_waitcnt lgkmcnt(0)
	v_add_f32_e32 v0, v6, v5
	v_sub_f32_e32 v1, v5, v6
	s_and_saveexec_b64 s[4:5], vcc
	s_xor_b64 s[4:5], exec, s[4:5]
	s_cbranch_execz .LBB0_15
; %bb.14:
	v_mov_b32_e32 v13, 0
	v_lshlrev_b64 v[0:1], 3, v[12:13]
	v_mov_b32_e32 v2, s7
	v_add_co_u32_e32 v0, vcc, s6, v0
	v_addc_co_u32_e32 v1, vcc, v2, v1, vcc
	global_load_dwordx2 v[2:3], v[0:1], off
	ds_read_b32 v0, v4 offset:27652
	ds_read_b32 v1, v16 offset:4
	v_add_f32_e32 v7, v6, v5
	v_sub_f32_e32 v8, v5, v6
	s_waitcnt lgkmcnt(0)
	v_add_f32_e32 v9, v0, v1
	v_sub_f32_e32 v0, v1, v0
	s_waitcnt vmcnt(0)
	v_fma_f32 v10, v8, v3, v7
	v_fma_f32 v1, v9, v3, v0
	v_fma_f32 v5, -v8, v3, v7
	v_fma_f32 v6, v9, v3, -v0
	v_fma_f32 v0, -v2, v9, v10
	v_fmac_f32_e32 v1, v8, v2
	v_fmac_f32_e32 v5, v2, v9
	;; [unrolled: 1-line block ×3, first 2 shown]
	v_mov_b32_e32 v2, v12
	ds_write_b64 v4, v[5:6] offset:27648
	v_mov_b32_e32 v3, v13
.LBB0_15:
	s_andn2_saveexec_b64 s[4:5], s[4:5]
	s_cbranch_execz .LBB0_17
; %bb.16:
	v_mov_b32_e32 v7, 0
	ds_read_b64 v[2:3], v7 offset:13824
	s_waitcnt lgkmcnt(0)
	v_add_f32_e32 v5, v2, v2
	v_mul_f32_e32 v6, -2.0, v3
	v_mov_b32_e32 v2, 0
	v_mov_b32_e32 v3, 0
	ds_write_b64 v7, v[5:6] offset:13824
.LBB0_17:
	s_or_b64 exec, exec, s[4:5]
	v_lshlrev_b64 v[2:3], 3, v[2:3]
	v_mov_b32_e32 v5, s7
	v_add_co_u32_e32 v2, vcc, s6, v2
	v_addc_co_u32_e32 v3, vcc, v5, v3, vcc
	global_load_dwordx2 v[5:6], v[2:3], off offset:1152
	global_load_dwordx2 v[7:8], v[2:3], off offset:2304
	;; [unrolled: 1-line block ×3, first 2 shown]
	s_movk_i32 s4, 0x1000
	v_add_co_u32_e32 v17, vcc, s4, v2
	v_addc_co_u32_e32 v18, vcc, 0, v3, vcc
	global_load_dwordx2 v[19:20], v[17:18], off offset:512
	ds_write_b64 v16, v[0:1]
	ds_read_b64 v[0:1], v16 offset:1152
	ds_read_b64 v[21:22], v4 offset:26496
	global_load_dwordx2 v[23:24], v[17:18], off offset:1664
	s_movk_i32 s5, 0x2000
	s_movk_i32 s6, 0x3000
	v_mul_u32_u24_e32 v71, 6, v12
	s_waitcnt lgkmcnt(0)
	v_add_f32_e32 v11, v0, v21
	v_add_f32_e32 v13, v22, v1
	v_sub_f32_e32 v25, v0, v21
	v_sub_f32_e32 v21, v1, v22
	v_lshl_add_u32 v71, v71, 3, 0
	v_add_u32_e32 v72, 0x1b00, v71
	s_movk_i32 s7, 0xab
	s_waitcnt vmcnt(4)
	v_fma_f32 v26, v25, v6, v11
	v_fma_f32 v22, v13, v6, v21
	v_fma_f32 v0, -v25, v6, v11
	v_fma_f32 v1, v13, v6, -v21
	v_fma_f32 v21, -v5, v13, v26
	v_fmac_f32_e32 v22, v25, v5
	v_fmac_f32_e32 v0, v5, v13
	;; [unrolled: 1-line block ×3, first 2 shown]
	ds_write_b64 v16, v[21:22] offset:1152
	ds_write_b64 v4, v[0:1] offset:26496
	ds_read_b64 v[0:1], v16 offset:2304
	ds_read_b64 v[5:6], v4 offset:25344
	global_load_dwordx2 v[21:22], v[17:18], off offset:2816
	s_waitcnt lgkmcnt(0)
	v_add_f32_e32 v11, v0, v5
	v_add_f32_e32 v13, v6, v1
	v_sub_f32_e32 v25, v0, v5
	v_sub_f32_e32 v5, v1, v6
	s_waitcnt vmcnt(4)
	v_fma_f32 v26, v25, v8, v11
	v_fma_f32 v6, v13, v8, v5
	v_fma_f32 v0, -v25, v8, v11
	v_fma_f32 v1, v13, v8, -v5
	v_fma_f32 v5, -v7, v13, v26
	v_fmac_f32_e32 v6, v25, v7
	v_fmac_f32_e32 v0, v7, v13
	;; [unrolled: 1-line block ×3, first 2 shown]
	ds_write_b64 v16, v[5:6] offset:2304
	ds_write_b64 v4, v[0:1] offset:25344
	ds_read_b64 v[0:1], v16 offset:3456
	ds_read_b64 v[5:6], v4 offset:24192
	global_load_dwordx2 v[7:8], v[17:18], off offset:3968
	s_waitcnt lgkmcnt(0)
	v_add_f32_e32 v11, v0, v5
	v_add_f32_e32 v13, v6, v1
	v_sub_f32_e32 v17, v0, v5
	v_sub_f32_e32 v0, v1, v6
	s_waitcnt vmcnt(4)
	v_fma_f32 v18, v17, v10, v11
	v_fma_f32 v1, v13, v10, v0
	v_fma_f32 v5, -v17, v10, v11
	v_fma_f32 v6, v13, v10, -v0
	v_fma_f32 v0, -v9, v13, v18
	v_fmac_f32_e32 v1, v17, v9
	v_fmac_f32_e32 v5, v9, v13
	;; [unrolled: 1-line block ×3, first 2 shown]
	v_add_co_u32_e32 v9, vcc, s5, v2
	ds_write_b64 v16, v[0:1] offset:3456
	ds_write_b64 v4, v[5:6] offset:24192
	v_addc_co_u32_e32 v10, vcc, 0, v3, vcc
	ds_read_b64 v[0:1], v16 offset:4608
	ds_read_b64 v[5:6], v4 offset:23040
	global_load_dwordx2 v[17:18], v[9:10], off offset:1024
	v_add_co_u32_e32 v2, vcc, s6, v2
	v_addc_co_u32_e32 v3, vcc, 0, v3, vcc
	s_waitcnt lgkmcnt(0)
	v_add_f32_e32 v11, v0, v5
	v_add_f32_e32 v13, v6, v1
	v_sub_f32_e32 v25, v0, v5
	v_sub_f32_e32 v0, v1, v6
	s_waitcnt vmcnt(4)
	v_fma_f32 v26, v25, v20, v11
	v_fma_f32 v1, v13, v20, v0
	v_fma_f32 v5, -v25, v20, v11
	v_fma_f32 v6, v13, v20, -v0
	v_fma_f32 v0, -v19, v13, v26
	v_fmac_f32_e32 v1, v25, v19
	v_fmac_f32_e32 v5, v19, v13
	v_fmac_f32_e32 v6, v25, v19
	ds_write_b64 v16, v[0:1] offset:4608
	ds_write_b64 v4, v[5:6] offset:23040
	ds_read_b64 v[0:1], v16 offset:5760
	ds_read_b64 v[5:6], v4 offset:21888
	global_load_dwordx2 v[19:20], v[9:10], off offset:2176
	s_waitcnt lgkmcnt(0)
	v_add_f32_e32 v11, v0, v5
	v_add_f32_e32 v13, v6, v1
	v_sub_f32_e32 v25, v0, v5
	v_sub_f32_e32 v5, v1, v6
	s_waitcnt vmcnt(4)
	v_fma_f32 v26, v25, v24, v11
	v_fma_f32 v6, v13, v24, v5
	v_fma_f32 v0, -v25, v24, v11
	v_fma_f32 v1, v13, v24, -v5
	v_fma_f32 v5, -v23, v13, v26
	v_fmac_f32_e32 v6, v25, v23
	v_fmac_f32_e32 v0, v23, v13
	v_fmac_f32_e32 v1, v25, v23
	ds_write_b64 v16, v[5:6] offset:5760
	ds_write_b64 v4, v[0:1] offset:21888
	ds_read_b64 v[0:1], v16 offset:6912
	ds_read_b64 v[5:6], v4 offset:20736
	global_load_dwordx2 v[9:10], v[9:10], off offset:3328
	;; [unrolled: 19-line block ×3, first 2 shown]
	s_waitcnt lgkmcnt(0)
	v_add_f32_e32 v11, v0, v5
	v_add_f32_e32 v13, v6, v1
	v_sub_f32_e32 v21, v0, v5
	v_sub_f32_e32 v6, v1, v6
	s_waitcnt vmcnt(4)
	v_fma_f32 v0, v21, v8, v11
	v_fma_f32 v1, v13, v8, v6
	v_fma_f32 v5, -v21, v8, v11
	v_fma_f32 v6, v13, v8, -v6
	v_fma_f32 v0, -v7, v13, v0
	v_fmac_f32_e32 v1, v21, v7
	v_fmac_f32_e32 v5, v7, v13
	;; [unrolled: 1-line block ×3, first 2 shown]
	ds_write_b64 v16, v[0:1] offset:8064
	ds_write_b64 v4, v[5:6] offset:19584
	ds_read_b64 v[0:1], v16 offset:9216
	ds_read_b64 v[5:6], v4 offset:18432
	v_add_u32_e32 v13, 0x4800, v16
	s_waitcnt lgkmcnt(0)
	v_add_f32_e32 v7, v0, v5
	v_add_f32_e32 v8, v6, v1
	v_sub_f32_e32 v5, v0, v5
	v_sub_f32_e32 v6, v1, v6
	s_waitcnt vmcnt(3)
	v_fma_f32 v0, v5, v18, v7
	v_fma_f32 v1, v8, v18, v6
	v_fma_f32 v0, -v17, v8, v0
	v_fmac_f32_e32 v1, v5, v17
	ds_write_b64 v16, v[0:1] offset:9216
	v_fma_f32 v0, -v5, v18, v7
	v_fma_f32 v1, v8, v18, -v6
	v_fmac_f32_e32 v0, v17, v8
	v_fmac_f32_e32 v1, v5, v17
	ds_write_b64 v4, v[0:1] offset:18432
	ds_read_b64 v[0:1], v16 offset:10368
	ds_read_b64 v[5:6], v4 offset:17280
	v_add_u32_e32 v18, 0x2400, v16
	v_add_u32_e32 v17, 0x1000, v16
	s_waitcnt lgkmcnt(0)
	v_add_f32_e32 v7, v0, v5
	v_add_f32_e32 v8, v6, v1
	v_sub_f32_e32 v5, v0, v5
	v_sub_f32_e32 v6, v1, v6
	s_waitcnt vmcnt(2)
	v_fma_f32 v0, v5, v20, v7
	v_fma_f32 v1, v8, v20, v6
	v_fma_f32 v0, -v19, v8, v0
	v_fmac_f32_e32 v1, v5, v19
	ds_write_b64 v16, v[0:1] offset:10368
	v_fma_f32 v0, -v5, v20, v7
	v_fma_f32 v1, v8, v20, -v6
	v_fmac_f32_e32 v0, v19, v8
	v_fmac_f32_e32 v1, v5, v19
	ds_write_b64 v4, v[0:1] offset:17280
	ds_read_b64 v[0:1], v16 offset:11520
	ds_read_b64 v[5:6], v4 offset:16128
	v_add_u32_e32 v20, 0x3400, v16
	v_add_u32_e32 v19, 0x5800, v16
	s_waitcnt lgkmcnt(0)
	v_add_f32_e32 v7, v0, v5
	v_add_f32_e32 v8, v6, v1
	v_sub_f32_e32 v5, v0, v5
	v_sub_f32_e32 v6, v1, v6
	s_waitcnt vmcnt(1)
	v_fma_f32 v0, v5, v10, v7
	v_fma_f32 v1, v8, v10, v6
	v_fma_f32 v0, -v9, v8, v0
	v_fmac_f32_e32 v1, v5, v9
	ds_write_b64 v16, v[0:1] offset:11520
	v_fma_f32 v0, -v5, v10, v7
	v_fma_f32 v1, v8, v10, -v6
	v_fmac_f32_e32 v0, v9, v8
	v_fmac_f32_e32 v1, v5, v9
	ds_write_b64 v4, v[0:1] offset:16128
	ds_read_b64 v[0:1], v16 offset:12672
	ds_read_b64 v[5:6], v4 offset:14976
	s_waitcnt lgkmcnt(0)
	v_add_f32_e32 v7, v0, v5
	v_add_f32_e32 v8, v6, v1
	v_sub_f32_e32 v5, v0, v5
	v_sub_f32_e32 v6, v1, v6
	s_waitcnt vmcnt(0)
	v_fma_f32 v0, v5, v3, v7
	v_fma_f32 v1, v8, v3, v6
	v_fma_f32 v0, -v2, v8, v0
	v_fmac_f32_e32 v1, v5, v2
	ds_write_b64 v16, v[0:1] offset:12672
	v_fma_f32 v0, -v5, v3, v7
	v_fma_f32 v1, v8, v3, -v6
	v_fmac_f32_e32 v0, v2, v8
	v_fmac_f32_e32 v1, v5, v2
	ds_write_b64 v4, v[0:1] offset:14976
	s_waitcnt lgkmcnt(0)
	s_barrier
	s_barrier
	ds_read2_b64 v[0:3], v16 offset1:144
	ds_read2_b64 v[4:7], v18 offset1:144
	;; [unrolled: 1-line block ×3, first 2 shown]
	ds_read2_b64 v[22:25], v17 offset0:64 offset1:208
	ds_read2_b64 v[26:29], v20 offset0:64 offset1:208
	;; [unrolled: 1-line block ×3, first 2 shown]
	s_waitcnt lgkmcnt(4)
	v_add_f32_e32 v21, v3, v7
	s_waitcnt lgkmcnt(3)
	v_add_f32_e32 v34, v7, v11
	;; [unrolled: 2-line block ×3, first 2 shown]
	v_fmac_f32_e32 v3, -0.5, v34
	v_add_f32_e32 v34, v25, v29
	v_fmac_f32_e32 v25, -0.5, v35
	v_add_f32_e32 v35, v28, v32
	v_fma_f32 v58, -0.5, v35, v24
	v_sub_f32_e32 v60, v28, v32
	v_mov_b32_e32 v35, v25
	v_sub_f32_e32 v59, v29, v33
	v_mov_b32_e32 v29, v58
	v_fmac_f32_e32 v35, 0xbf5db3d7, v60
	v_fmac_f32_e32 v29, 0x3f5db3d7, v59
	v_mul_f32_e32 v61, 0x3f5db3d7, v35
	v_fmac_f32_e32 v61, 0.5, v29
	v_mul_f32_e32 v62, 0xbf5db3d7, v29
	v_add_f32_e32 v29, v2, v6
	v_add_f32_e32 v63, v29, v10
	;; [unrolled: 1-line block ×3, first 2 shown]
	v_fma_f32 v64, -0.5, v29, v2
	v_sub_f32_e32 v65, v7, v11
	v_mov_b32_e32 v66, v64
	v_sub_f32_e32 v68, v6, v10
	v_mov_b32_e32 v69, v3
	v_add_f32_e32 v2, v24, v28
	v_fmac_f32_e32 v62, 0.5, v35
	v_fmac_f32_e32 v66, 0x3f5db3d7, v65
	v_add_f32_e32 v67, v21, v11
	v_fmac_f32_e32 v69, 0xbf5db3d7, v68
	v_add_f32_e32 v24, v2, v32
	v_add_f32_e32 v70, v34, v33
	v_add_u32_e32 v10, 0x800, v16
	v_add_f32_e32 v28, v63, v24
	v_add_f32_e32 v29, v67, v70
	;; [unrolled: 1-line block ×4, first 2 shown]
	v_add_u32_e32 v21, 0x1800, v16
	v_add_u32_e32 v6, 0x2c00, v16
	;; [unrolled: 1-line block ×5, first 2 shown]
	ds_read2_b64 v[32:35], v10 offset0:32 offset1:176
	ds_read2_b64 v[36:39], v21 offset0:96 offset1:240
	ds_read2_b64 v[40:43], v6 offset0:32 offset1:176
	ds_read2_b64 v[44:47], v7 offset0:96 offset1:240
	ds_read2_b64 v[48:51], v11 offset0:32 offset1:176
	ds_read2_b64 v[52:55], v2 offset0:96 offset1:240
	v_fmac_f32_e32 v58, 0xbf5db3d7, v59
	v_fmac_f32_e32 v25, 0x3f5db3d7, v60
	s_waitcnt lgkmcnt(0)
	s_barrier
	ds_write2_b64 v72, v[28:29], v[56:57] offset1:1
	v_mul_f32_e32 v56, -0.5, v25
	v_mul_f32_e32 v57, -0.5, v58
	v_fmac_f32_e32 v64, 0xbf5db3d7, v65
	v_fmac_f32_e32 v3, 0x3f5db3d7, v68
	;; [unrolled: 1-line block ×4, first 2 shown]
	v_sub_f32_e32 v28, v63, v24
	v_sub_f32_e32 v29, v67, v70
	v_add_f32_e32 v24, v64, v57
	v_add_f32_e32 v25, v3, v56
	v_add_u32_e32 v58, 0x1b10, v71
	ds_write2_b64 v58, v[24:25], v[28:29] offset1:1
	v_sub_f32_e32 v24, v66, v61
	v_sub_f32_e32 v25, v69, v62
	;; [unrolled: 1-line block ×4, first 2 shown]
	v_add_u32_e32 v3, 0x1b20, v71
	ds_write2_b64 v3, v[24:25], v[28:29] offset1:1
	v_add_f32_e32 v25, v45, v53
	v_add_f32_e32 v3, v44, v52
	v_fma_f32 v57, -0.5, v25, v37
	v_fma_f32 v3, -0.5, v3, v36
	v_sub_f32_e32 v58, v44, v52
	v_mov_b32_e32 v25, v57
	v_sub_f32_e32 v56, v45, v53
	v_mov_b32_e32 v24, v3
	v_fmac_f32_e32 v25, 0xbf5db3d7, v58
	v_fmac_f32_e32 v24, 0x3f5db3d7, v56
	v_mul_f32_e32 v59, 0x3f5db3d7, v25
	v_fmac_f32_e32 v59, 0.5, v24
	v_mul_f32_e32 v60, 0xbf5db3d7, v24
	v_add_f32_e32 v24, v32, v40
	v_add_f32_e32 v61, v24, v48
	;; [unrolled: 1-line block ×3, first 2 shown]
	v_fma_f32 v32, -0.5, v24, v32
	v_add_f32_e32 v24, v33, v41
	v_add_f32_e32 v64, v24, v49
	;; [unrolled: 1-line block ×3, first 2 shown]
	v_fma_f32 v33, -0.5, v24, v33
	v_add_f32_e32 v24, v36, v44
	v_sub_f32_e32 v62, v41, v49
	v_mov_b32_e32 v63, v32
	v_sub_f32_e32 v40, v40, v48
	v_mov_b32_e32 v41, v33
	v_add_f32_e32 v36, v24, v52
	v_add_f32_e32 v24, v37, v45
	v_fmac_f32_e32 v60, 0.5, v25
	v_fmac_f32_e32 v63, 0x3f5db3d7, v62
	v_fmac_f32_e32 v41, 0xbf5db3d7, v40
	v_add_f32_e32 v37, v24, v53
	v_add_f32_e32 v24, v61, v36
	;; [unrolled: 1-line block ×5, first 2 shown]
	v_add_u32_e32 v44, 0x3600, v71
	v_fmac_f32_e32 v3, 0xbf5db3d7, v56
	v_fmac_f32_e32 v57, 0x3f5db3d7, v58
	ds_write2_b64 v44, v[24:25], v[28:29] offset1:1
	v_sub_f32_e32 v24, v61, v36
	v_sub_f32_e32 v25, v64, v37
	v_mul_f32_e32 v36, -0.5, v3
	v_mul_f32_e32 v37, -0.5, v57
	v_fmac_f32_e32 v32, 0xbf5db3d7, v62
	v_fmac_f32_e32 v33, 0x3f5db3d7, v40
	;; [unrolled: 1-line block ×4, first 2 shown]
	v_add_f32_e32 v28, v32, v36
	v_add_f32_e32 v29, v33, v37
	v_add_u32_e32 v3, 0x3610, v71
	ds_write2_b64 v3, v[28:29], v[24:25] offset1:1
	v_sub_f32_e32 v24, v63, v59
	v_sub_f32_e32 v25, v41, v60
	;; [unrolled: 1-line block ×4, first 2 shown]
	v_add_u32_e32 v3, 0x3620, v71
	ds_write2_b64 v3, v[24:25], v[28:29] offset1:1
	v_add_f32_e32 v25, v35, v43
	v_add_f32_e32 v29, v46, v54
	;; [unrolled: 1-line block ×7, first 2 shown]
	v_fmac_f32_e32 v39, -0.5, v41
	v_fma_f32 v38, -0.5, v29, v38
	v_add_f32_e32 v3, v34, v42
	v_add_f32_e32 v24, v42, v50
	v_sub_f32_e32 v32, v43, v51
	v_sub_f32_e32 v33, v42, v50
	;; [unrolled: 1-line block ×4, first 2 shown]
	v_add_f32_e32 v43, v25, v54
	v_fmac_f32_e32 v35, -0.5, v28
	v_mov_b32_e32 v25, v38
	v_mov_b32_e32 v28, v39
	v_fmac_f32_e32 v25, 0x3f5db3d7, v37
	v_fmac_f32_e32 v28, 0xbf5db3d7, v42
	v_fma_f32 v34, -0.5, v24, v34
	v_fmac_f32_e32 v38, 0xbf5db3d7, v37
	v_mul_f32_e32 v41, 0x3f5db3d7, v28
	v_mul_f32_e32 v44, 0xbf5db3d7, v25
	v_mov_b32_e32 v45, v34
	v_mov_b32_e32 v46, v35
	v_fmac_f32_e32 v39, 0x3f5db3d7, v42
	v_mul_f32_e32 v37, -0.5, v38
	v_add_f32_e32 v3, v3, v50
	v_add_f32_e32 v40, v40, v55
	v_fmac_f32_e32 v41, 0.5, v25
	v_fmac_f32_e32 v44, 0.5, v28
	v_fmac_f32_e32 v45, 0x3f5db3d7, v32
	v_fmac_f32_e32 v46, 0xbf5db3d7, v33
	;; [unrolled: 1-line block ×3, first 2 shown]
	v_mul_f32_e32 v39, -0.5, v39
	v_add_f32_e32 v24, v3, v43
	v_add_f32_e32 v25, v36, v40
	;; [unrolled: 1-line block ×4, first 2 shown]
	v_add_u32_e32 v47, 0x5100, v71
	v_fmac_f32_e32 v34, 0xbf5db3d7, v32
	v_fmac_f32_e32 v35, 0x3f5db3d7, v33
	;; [unrolled: 1-line block ×3, first 2 shown]
	ds_write2_b64 v47, v[24:25], v[28:29] offset1:1
	v_sub_f32_e32 v24, v3, v43
	v_sub_f32_e32 v25, v36, v40
	v_add_f32_e32 v28, v34, v37
	v_add_f32_e32 v29, v35, v39
	v_add_u32_e32 v3, 0x5110, v71
	ds_write2_b64 v3, v[28:29], v[24:25] offset1:1
	v_sub_f32_e32 v25, v5, v9
	v_add_f32_e32 v28, v1, v5
	v_add_f32_e32 v5, v5, v9
	;; [unrolled: 1-line block ×4, first 2 shown]
	v_sub_f32_e32 v29, v4, v8
	v_fma_f32 v5, -0.5, v5, v1
	v_add_f32_e32 v1, v26, v30
	v_add_f32_e32 v4, v27, v31
	;; [unrolled: 1-line block ×3, first 2 shown]
	v_fma_f32 v24, -0.5, v24, v0
	v_add_f32_e32 v0, v22, v26
	v_add_f32_e32 v3, v23, v27
	v_fma_f32 v22, -0.5, v1, v22
	v_fma_f32 v23, -0.5, v4, v23
	v_add_f32_e32 v9, v28, v9
	v_sub_f32_e32 v28, v27, v31
	v_sub_f32_e32 v26, v26, v30
	v_add_f32_e32 v27, v0, v30
	v_mov_b32_e32 v0, v22
	v_mov_b32_e32 v1, v23
	v_fmac_f32_e32 v0, 0x3f5db3d7, v28
	v_fmac_f32_e32 v1, 0xbf5db3d7, v26
	v_add_f32_e32 v30, v3, v31
	v_mul_f32_e32 v31, 0x3f5db3d7, v1
	v_mul_f32_e32 v32, 0xbf5db3d7, v0
	v_mov_b32_e32 v33, v24
	v_mov_b32_e32 v36, v5
	v_fmac_f32_e32 v31, 0.5, v0
	v_fmac_f32_e32 v32, 0.5, v1
	v_fmac_f32_e32 v33, 0x3f5db3d7, v25
	v_fmac_f32_e32 v36, 0xbf5db3d7, v29
	v_add_f32_e32 v0, v8, v27
	v_add_f32_e32 v1, v9, v30
	;; [unrolled: 1-line block ×4, first 2 shown]
	v_fmac_f32_e32 v22, 0xbf5db3d7, v28
	v_fmac_f32_e32 v23, 0x3f5db3d7, v26
	ds_write2_b64 v71, v[0:1], v[3:4] offset1:1
	v_sub_f32_e32 v0, v8, v27
	v_sub_f32_e32 v1, v9, v30
	v_mul_f32_e32 v8, -0.5, v22
	v_mul_f32_e32 v9, -0.5, v23
	v_fmac_f32_e32 v24, 0xbf5db3d7, v25
	v_fmac_f32_e32 v5, 0x3f5db3d7, v29
	;; [unrolled: 1-line block ×4, first 2 shown]
	v_add_f32_e32 v3, v24, v8
	v_add_f32_e32 v4, v5, v9
	ds_write2_b64 v71, v[3:4], v[0:1] offset0:2 offset1:3
	v_sub_f32_e32 v0, v33, v31
	v_sub_f32_e32 v1, v36, v32
	;; [unrolled: 1-line block ×4, first 2 shown]
	ds_write2_b64 v71, v[0:1], v[3:4] offset0:4 offset1:5
	v_sub_f32_e32 v1, v35, v39
	v_sub_f32_e32 v0, v34, v37
	;; [unrolled: 1-line block ×4, first 2 shown]
	v_add_u32_e32 v5, 0x5120, v71
	ds_write2_b64 v5, v[3:4], v[0:1] offset1:1
	v_mul_lo_u16_sdwa v0, v12, s7 dst_sel:DWORD dst_unused:UNUSED_PAD src0_sel:BYTE_0 src1_sel:DWORD
	v_lshrrev_b16_e32 v0, 10, v0
	v_mul_lo_u16_e32 v1, 6, v0
	v_sub_u16_e32 v26, v12, v1
	v_mov_b32_e32 v1, 5
	v_mul_u32_u24_sdwa v3, v26, v1 dst_sel:DWORD dst_unused:UNUSED_PAD src0_sel:BYTE_0 src1_sel:DWORD
	v_lshlrev_b32_e32 v59, 3, v3
	s_waitcnt lgkmcnt(0)
	s_barrier
	global_load_dwordx4 v[27:30], v59, s[8:9]
	s_mov_b32 s7, 0xaaab
	v_add_u32_e32 v3, 0x90, v12
	v_mul_u32_u24_sdwa v4, v3, s7 dst_sel:DWORD dst_unused:UNUSED_PAD src0_sel:WORD_0 src1_sel:DWORD
	v_lshrrev_b32_e32 v22, 18, v4
	v_mul_lo_u16_e32 v4, 6, v22
	v_sub_u16_e32 v23, v3, v4
	v_mul_u32_u24_e32 v4, 5, v23
	v_lshlrev_b32_e32 v63, 3, v4
	global_load_dwordx4 v[31:34], v63, s[8:9]
	global_load_dwordx4 v[35:38], v59, s[8:9] offset:16
	global_load_dwordx4 v[39:42], v63, s[8:9] offset:16
	v_add_u32_e32 v5, 0x120, v12
	v_mul_u32_u24_sdwa v4, v5, s7 dst_sel:DWORD dst_unused:UNUSED_PAD src0_sel:WORD_0 src1_sel:DWORD
	v_lshrrev_b32_e32 v24, 18, v4
	v_mul_lo_u16_e32 v4, 6, v24
	v_sub_u16_e32 v25, v5, v4
	v_mul_u32_u24_e32 v4, 5, v25
	v_lshlrev_b32_e32 v71, 3, v4
	v_add_u32_e32 v4, 0x1b0, v12
	v_mul_u32_u24_sdwa v8, v4, s7 dst_sel:DWORD dst_unused:UNUSED_PAD src0_sel:WORD_0 src1_sel:DWORD
	global_load_dwordx4 v[43:46], v71, s[8:9]
	v_lshrrev_b32_e32 v8, 18, v8
	v_mul_lo_u16_e32 v9, 6, v8
	v_sub_u16_e32 v9, v4, v9
	v_mul_u32_u24_e32 v47, 5, v9
	v_lshlrev_b32_e32 v73, 3, v47
	global_load_dwordx4 v[47:50], v73, s[8:9]
	global_load_dwordx4 v[51:54], v71, s[8:9] offset:16
	global_load_dwordx4 v[55:58], v73, s[8:9] offset:16
	global_load_dwordx2 v[67:68], v59, s[8:9] offset:32
	ds_read2_b64 v[59:62], v17 offset0:64 offset1:208
	global_load_dwordx2 v[69:70], v63, s[8:9] offset:32
	v_mul_u32_u24_e32 v22, 0x120, v22
	v_lshlrev_b32_e32 v23, 3, v23
	v_mul_u32_u24_e32 v24, 0x120, v24
	v_lshlrev_b32_e32 v25, 3, v25
	;; [unrolled: 2-line block ×3, first 2 shown]
	s_mov_b32 s7, 0xe38f
	s_waitcnt vmcnt(9) lgkmcnt(0)
	v_mul_f32_e32 v72, v28, v60
	v_fma_f32 v74, v27, v59, -v72
	global_load_dwordx2 v[71:72], v71, s[8:9] offset:32
	v_mul_f32_e32 v75, v28, v59
	v_fmac_f32_e32 v75, v27, v60
	global_load_dwordx2 v[59:60], v73, s[8:9] offset:32
	ds_read2_b64 v[63:66], v18 offset1:144
	s_waitcnt lgkmcnt(0)
	v_mul_f32_e32 v27, v30, v64
	v_fma_f32 v76, v29, v63, -v27
	v_mul_f32_e32 v63, v30, v63
	s_waitcnt vmcnt(10)
	v_mul_f32_e32 v27, v62, v32
	v_fmac_f32_e32 v63, v29, v64
	v_fma_f32 v64, v61, v31, -v27
	v_mul_f32_e32 v61, v61, v32
	v_fmac_f32_e32 v61, v62, v31
	v_mul_f32_e32 v31, v66, v34
	ds_read2_b64 v[27:30], v20 offset0:64 offset1:208
	v_fma_f32 v62, v65, v33, -v31
	v_mul_f32_e32 v65, v65, v34
	v_fmac_f32_e32 v65, v66, v33
	ds_read2_b64 v[31:34], v13 offset1:144
	s_waitcnt vmcnt(9) lgkmcnt(1)
	v_mul_f32_e32 v66, v28, v36
	v_fma_f32 v66, v27, v35, -v66
	v_mul_f32_e32 v73, v27, v36
	v_fmac_f32_e32 v73, v28, v35
	s_waitcnt lgkmcnt(0)
	v_mul_f32_e32 v27, v32, v38
	v_fma_f32 v77, v31, v37, -v27
	s_waitcnt vmcnt(8)
	v_mul_f32_e32 v27, v30, v40
	v_mul_f32_e32 v40, v29, v40
	;; [unrolled: 1-line block ×3, first 2 shown]
	v_fma_f32 v78, v29, v39, -v27
	v_fmac_f32_e32 v40, v30, v39
	v_mul_f32_e32 v31, v34, v42
	ds_read2_b64 v[27:30], v21 offset0:96 offset1:240
	v_mul_f32_e32 v42, v33, v42
	v_fmac_f32_e32 v38, v32, v37
	v_fma_f32 v39, v33, v41, -v31
	v_fmac_f32_e32 v42, v34, v41
	ds_read2_b64 v[31:34], v6 offset0:32 offset1:176
	s_waitcnt vmcnt(7) lgkmcnt(1)
	v_mul_f32_e32 v35, v28, v44
	v_fma_f32 v41, v27, v43, -v35
	v_mul_f32_e32 v44, v27, v44
	v_fmac_f32_e32 v44, v28, v43
	s_waitcnt lgkmcnt(0)
	v_mul_f32_e32 v27, v32, v46
	v_fma_f32 v43, v31, v45, -v27
	v_mul_f32_e32 v46, v31, v46
	s_waitcnt vmcnt(6)
	v_mul_f32_e32 v27, v30, v48
	v_mul_f32_e32 v28, v29, v48
	v_fmac_f32_e32 v46, v32, v45
	v_fma_f32 v27, v29, v47, -v27
	v_fmac_f32_e32 v28, v30, v47
	v_mul_f32_e32 v35, v34, v50
	ds_read2_b64 v[29:32], v7 offset0:96 offset1:240
	v_mul_f32_e32 v47, v33, v50
	v_fma_f32 v45, v33, v49, -v35
	v_fmac_f32_e32 v47, v34, v49
	ds_read2_b64 v[33:36], v11 offset0:32 offset1:176
	s_waitcnt vmcnt(5) lgkmcnt(1)
	v_mul_f32_e32 v37, v30, v52
	v_mul_f32_e32 v49, v29, v52
	v_fma_f32 v48, v29, v51, -v37
	v_fmac_f32_e32 v49, v30, v51
	s_waitcnt lgkmcnt(0)
	v_mul_f32_e32 v29, v34, v54
	v_mul_f32_e32 v51, v33, v54
	v_fma_f32 v50, v33, v53, -v29
	v_fmac_f32_e32 v51, v34, v53
	s_waitcnt vmcnt(4)
	v_mul_f32_e32 v29, v32, v56
	v_mul_f32_e32 v53, v31, v56
	v_fma_f32 v52, v31, v55, -v29
	v_fmac_f32_e32 v53, v32, v55
	ds_read2_b64 v[29:32], v19 offset0:64 offset1:208
	v_mul_f32_e32 v33, v36, v58
	v_fma_f32 v54, v35, v57, -v33
	v_mul_f32_e32 v55, v35, v58
	v_fmac_f32_e32 v55, v36, v57
	s_waitcnt vmcnt(3) lgkmcnt(0)
	v_mul_f32_e32 v33, v30, v68
	v_fma_f32 v37, v29, v67, -v33
	ds_read2_b64 v[33:36], v2 offset0:96 offset1:240
	v_mul_f32_e32 v56, v29, v68
	s_waitcnt vmcnt(2)
	v_mul_f32_e32 v29, v32, v70
	v_fma_f32 v57, v31, v69, -v29
	v_mul_f32_e32 v58, v31, v70
	s_waitcnt vmcnt(1) lgkmcnt(0)
	v_mul_f32_e32 v29, v34, v72
	v_fmac_f32_e32 v56, v30, v67
	v_fmac_f32_e32 v58, v32, v69
	v_fma_f32 v67, v33, v71, -v29
	v_mul_f32_e32 v68, v33, v72
	ds_read2_b64 v[29:32], v16 offset1:144
	s_waitcnt vmcnt(0)
	v_mul_f32_e32 v33, v36, v60
	v_mul_f32_e32 v60, v35, v60
	v_fmac_f32_e32 v60, v36, v59
	v_add_f32_e32 v36, v66, v37
	v_fma_f32 v69, v35, v59, -v33
	v_add_f32_e32 v35, v74, v66
	v_fmac_f32_e32 v74, -0.5, v36
	v_add_f32_e32 v36, v75, v73
	v_add_f32_e32 v72, v36, v56
	;; [unrolled: 1-line block ×3, first 2 shown]
	v_fmac_f32_e32 v75, -0.5, v36
	v_fmac_f32_e32 v68, v34, v71
	s_waitcnt lgkmcnt(0)
	v_add_f32_e32 v33, v30, v63
	v_add_f32_e32 v34, v29, v76
	v_sub_f32_e32 v66, v66, v37
	v_mov_b32_e32 v36, v75
	v_add_f32_e32 v59, v33, v38
	v_sub_f32_e32 v70, v63, v38
	v_add_f32_e32 v33, v63, v38
	v_add_f32_e32 v63, v34, v77
	v_add_f32_e32 v34, v76, v77
	v_sub_f32_e32 v71, v76, v77
	v_sub_f32_e32 v76, v73, v56
	v_add_f32_e32 v56, v35, v37
	v_mov_b32_e32 v35, v74
	v_fmac_f32_e32 v36, 0xbf5db3d7, v66
	v_fmac_f32_e32 v35, 0x3f5db3d7, v76
	v_mul_f32_e32 v73, 0x3f5db3d7, v36
	v_fma_f32 v79, -0.5, v34, v29
	v_fma_f32 v81, -0.5, v33, v30
	v_fmac_f32_e32 v73, 0.5, v35
	v_mul_f32_e32 v77, 0xbf5db3d7, v35
	v_mul_u32_u24_e32 v35, 0x120, v0
	v_mov_b32_e32 v0, 3
	v_mov_b32_e32 v80, v79
	;; [unrolled: 1-line block ×3, first 2 shown]
	v_fmac_f32_e32 v77, 0.5, v36
	v_lshlrev_b32_sdwa v26, v0, v26 dst_sel:DWORD dst_unused:UNUSED_PAD src0_sel:DWORD src1_sel:BYTE_0
	v_fmac_f32_e32 v80, 0x3f5db3d7, v70
	v_fmac_f32_e32 v82, 0xbf5db3d7, v71
	v_add3_u32 v26, 0, v35, v26
	v_add_f32_e32 v29, v63, v56
	v_add_f32_e32 v30, v59, v72
	;; [unrolled: 1-line block ×4, first 2 shown]
	v_fmac_f32_e32 v74, 0xbf5db3d7, v76
	v_fmac_f32_e32 v75, 0x3f5db3d7, v66
	ds_read2_b64 v[33:36], v10 offset0:32 offset1:176
	s_waitcnt lgkmcnt(0)
	s_barrier
	ds_write2_b64 v26, v[29:30], v[37:38] offset1:6
	v_sub_f32_e32 v29, v63, v56
	v_sub_f32_e32 v30, v59, v72
	v_mul_f32_e32 v56, -0.5, v74
	v_mul_f32_e32 v59, -0.5, v75
	v_fmac_f32_e32 v79, 0xbf5db3d7, v70
	v_fmac_f32_e32 v81, 0x3f5db3d7, v71
	;; [unrolled: 1-line block ×4, first 2 shown]
	v_add_f32_e32 v37, v79, v56
	v_add_f32_e32 v38, v81, v59
	ds_write2_b64 v26, v[37:38], v[29:30] offset0:12 offset1:18
	v_sub_f32_e32 v29, v80, v73
	v_sub_f32_e32 v30, v82, v77
	;; [unrolled: 1-line block ×4, first 2 shown]
	ds_write2_b64 v26, v[29:30], v[37:38] offset0:24 offset1:30
	v_add_f32_e32 v26, v32, v65
	v_add_f32_e32 v26, v26, v42
	v_sub_f32_e32 v37, v65, v42
	v_add_f32_e32 v29, v65, v42
	v_add_f32_e32 v42, v78, v57
	;; [unrolled: 1-line block ×3, first 2 shown]
	v_fmac_f32_e32 v64, -0.5, v42
	v_add_f32_e32 v42, v61, v40
	v_sub_f32_e32 v56, v40, v58
	v_add_f32_e32 v40, v40, v58
	v_fmac_f32_e32 v32, -0.5, v29
	v_add_f32_e32 v29, v31, v62
	v_fmac_f32_e32 v61, -0.5, v40
	v_add_f32_e32 v38, v29, v39
	v_add_f32_e32 v29, v62, v39
	;; [unrolled: 1-line block ×4, first 2 shown]
	v_sub_f32_e32 v57, v78, v57
	v_mov_b32_e32 v30, v64
	v_mov_b32_e32 v58, v61
	v_fmac_f32_e32 v30, 0x3f5db3d7, v56
	v_fmac_f32_e32 v58, 0xbf5db3d7, v57
	v_fma_f32 v31, -0.5, v29, v31
	v_sub_f32_e32 v39, v62, v39
	v_mul_f32_e32 v59, 0x3f5db3d7, v58
	v_mul_f32_e32 v62, 0xbf5db3d7, v30
	v_mov_b32_e32 v63, v31
	v_mov_b32_e32 v65, v32
	v_fmac_f32_e32 v59, 0.5, v30
	v_fmac_f32_e32 v62, 0.5, v58
	v_fmac_f32_e32 v63, 0x3f5db3d7, v37
	v_fmac_f32_e32 v65, 0xbf5db3d7, v39
	v_add3_u32 v58, 0, v22, v23
	v_add_f32_e32 v22, v38, v40
	v_add_f32_e32 v23, v26, v42
	;; [unrolled: 1-line block ×4, first 2 shown]
	v_fmac_f32_e32 v64, 0xbf5db3d7, v56
	v_fmac_f32_e32 v61, 0x3f5db3d7, v57
	ds_write2_b64 v58, v[22:23], v[29:30] offset1:6
	v_sub_f32_e32 v23, v26, v42
	v_fmac_f32_e32 v31, 0xbf5db3d7, v37
	v_mul_f32_e32 v26, -0.5, v64
	v_mul_f32_e32 v37, -0.5, v61
	v_fmac_f32_e32 v32, 0x3f5db3d7, v39
	v_fmac_f32_e32 v26, 0x3f5db3d7, v61
	;; [unrolled: 1-line block ×3, first 2 shown]
	v_sub_f32_e32 v22, v38, v40
	v_add_f32_e32 v29, v31, v26
	v_add_f32_e32 v30, v32, v37
	ds_write2_b64 v58, v[29:30], v[22:23] offset0:12 offset1:18
	v_sub_f32_e32 v23, v32, v37
	v_add_f32_e32 v37, v48, v67
	v_add_f32_e32 v39, v49, v68
	v_sub_f32_e32 v22, v31, v26
	v_sub_f32_e32 v29, v63, v59
	;; [unrolled: 1-line block ×3, first 2 shown]
	v_add_f32_e32 v32, v41, v48
	v_fmac_f32_e32 v41, -0.5, v37
	v_add_f32_e32 v37, v44, v49
	v_fmac_f32_e32 v44, -0.5, v39
	ds_write2_b64 v58, v[29:30], v[22:23] offset0:24 offset1:30
	v_add_f32_e32 v22, v34, v46
	v_add_f32_e32 v23, v33, v43
	v_sub_f32_e32 v39, v48, v67
	v_mov_b32_e32 v42, v44
	v_add_f32_e32 v26, v22, v51
	v_add_f32_e32 v22, v46, v51
	;; [unrolled: 1-line block ×4, first 2 shown]
	v_sub_f32_e32 v38, v49, v68
	v_mov_b32_e32 v40, v41
	v_fmac_f32_e32 v42, 0xbf5db3d7, v39
	v_sub_f32_e32 v31, v43, v50
	v_fmac_f32_e32 v40, 0x3f5db3d7, v38
	v_mul_f32_e32 v43, 0x3f5db3d7, v42
	v_fma_f32 v33, -0.5, v23, v33
	v_fma_f32 v34, -0.5, v22, v34
	v_sub_f32_e32 v29, v46, v51
	v_fmac_f32_e32 v43, 0.5, v40
	v_mul_f32_e32 v40, 0xbf5db3d7, v40
	v_mov_b32_e32 v46, v33
	v_mov_b32_e32 v48, v34
	v_add_f32_e32 v37, v37, v68
	v_add_f32_e32 v32, v32, v67
	v_fmac_f32_e32 v40, 0.5, v42
	v_fmac_f32_e32 v46, 0x3f5db3d7, v29
	v_fmac_f32_e32 v48, 0xbf5db3d7, v31
	v_add3_u32 v42, 0, v24, v25
	v_add_f32_e32 v22, v30, v32
	v_add_f32_e32 v23, v26, v37
	;; [unrolled: 1-line block ×4, first 2 shown]
	v_fmac_f32_e32 v41, 0xbf5db3d7, v38
	v_fmac_f32_e32 v44, 0x3f5db3d7, v39
	ds_write2_b64 v42, v[22:23], v[24:25] offset1:6
	v_sub_f32_e32 v23, v26, v37
	v_fmac_f32_e32 v33, 0xbf5db3d7, v29
	v_mul_f32_e32 v26, -0.5, v41
	v_mul_f32_e32 v29, -0.5, v44
	v_fmac_f32_e32 v34, 0x3f5db3d7, v31
	v_fmac_f32_e32 v26, 0x3f5db3d7, v44
	;; [unrolled: 1-line block ×3, first 2 shown]
	v_sub_f32_e32 v22, v30, v32
	v_add_f32_e32 v24, v33, v26
	v_add_f32_e32 v25, v34, v29
	ds_write2_b64 v42, v[24:25], v[22:23] offset0:12 offset1:18
	v_sub_f32_e32 v22, v46, v43
	v_sub_f32_e32 v23, v48, v40
	;; [unrolled: 1-line block ×4, first 2 shown]
	ds_write2_b64 v42, v[22:23], v[24:25] offset0:24 offset1:30
	v_add_f32_e32 v22, v36, v47
	v_add_f32_e32 v24, v22, v55
	;; [unrolled: 1-line block ×5, first 2 shown]
	v_fmac_f32_e32 v36, -0.5, v22
	v_add_f32_e32 v22, v35, v45
	v_add_f32_e32 v23, v27, v52
	v_fmac_f32_e32 v27, -0.5, v30
	v_add_f32_e32 v30, v28, v53
	v_fmac_f32_e32 v28, -0.5, v32
	v_add_f32_e32 v26, v22, v54
	v_add_f32_e32 v22, v45, v54
	v_sub_f32_e32 v31, v53, v60
	v_add_f32_e32 v32, v23, v69
	v_sub_f32_e32 v33, v52, v69
	v_mov_b32_e32 v23, v27
	v_mov_b32_e32 v34, v28
	v_fmac_f32_e32 v23, 0x3f5db3d7, v31
	v_fmac_f32_e32 v34, 0xbf5db3d7, v33
	v_fma_f32 v35, -0.5, v22, v35
	v_sub_f32_e32 v25, v47, v55
	v_sub_f32_e32 v29, v45, v54
	v_mul_f32_e32 v37, 0x3f5db3d7, v34
	v_mul_f32_e32 v38, 0xbf5db3d7, v23
	v_mov_b32_e32 v39, v35
	v_mov_b32_e32 v40, v36
	v_add_f32_e32 v30, v30, v60
	v_fmac_f32_e32 v37, 0.5, v23
	v_fmac_f32_e32 v38, 0.5, v34
	v_fmac_f32_e32 v39, 0x3f5db3d7, v25
	v_fmac_f32_e32 v40, 0xbf5db3d7, v29
	v_add3_u32 v34, 0, v8, v9
	v_add_f32_e32 v8, v26, v32
	v_add_f32_e32 v9, v24, v30
	;; [unrolled: 1-line block ×4, first 2 shown]
	v_fmac_f32_e32 v27, 0xbf5db3d7, v31
	v_fmac_f32_e32 v28, 0x3f5db3d7, v33
	ds_write2_b64 v34, v[8:9], v[22:23] offset1:6
	v_sub_f32_e32 v9, v24, v30
	v_fmac_f32_e32 v35, 0xbf5db3d7, v25
	v_mul_f32_e32 v24, -0.5, v27
	v_mul_f32_e32 v25, -0.5, v28
	v_fmac_f32_e32 v36, 0x3f5db3d7, v29
	v_fmac_f32_e32 v24, 0x3f5db3d7, v28
	;; [unrolled: 1-line block ×3, first 2 shown]
	v_sub_f32_e32 v8, v26, v32
	v_add_f32_e32 v22, v35, v24
	v_add_f32_e32 v23, v36, v25
	ds_write2_b64 v34, v[22:23], v[8:9] offset0:12 offset1:18
	v_sub_f32_e32 v9, v36, v25
	v_sub_f32_e32 v8, v35, v24
	;; [unrolled: 1-line block ×4, first 2 shown]
	ds_write2_b64 v34, v[22:23], v[8:9] offset0:24 offset1:30
	v_mov_b32_e32 v8, 57
	v_mul_lo_u16_sdwa v8, v12, v8 dst_sel:DWORD dst_unused:UNUSED_PAD src0_sel:BYTE_0 src1_sel:DWORD
	v_lshrrev_b16_e32 v26, 11, v8
	v_mul_lo_u16_e32 v8, 36, v26
	v_sub_u16_e32 v27, v12, v8
	v_mul_u32_u24_sdwa v1, v27, v1 dst_sel:DWORD dst_unused:UNUSED_PAD src0_sel:BYTE_0 src1_sel:DWORD
	v_lshlrev_b32_e32 v24, 3, v1
	v_mul_u32_u24_sdwa v1, v3, s7 dst_sel:DWORD dst_unused:UNUSED_PAD src0_sel:WORD_0 src1_sel:DWORD
	v_lshrrev_b32_e32 v22, 21, v1
	v_mul_lo_u16_e32 v1, 36, v22
	v_sub_u16_e32 v23, v3, v1
	s_waitcnt lgkmcnt(0)
	s_barrier
	global_load_dwordx4 v[28:31], v24, s[8:9] offset:240
	v_mul_u32_u24_e32 v1, 5, v23
	v_lshlrev_b32_e32 v25, 3, v1
	global_load_dwordx4 v[32:35], v25, s[8:9] offset:240
	v_mul_u32_u24_sdwa v1, v5, s7 dst_sel:DWORD dst_unused:UNUSED_PAD src0_sel:WORD_0 src1_sel:DWORD
	v_lshrrev_b32_e32 v8, 21, v1
	v_mul_lo_u16_e32 v1, 36, v8
	v_sub_u16_e32 v9, v5, v1
	v_mul_u32_u24_e32 v1, 5, v9
	v_lshlrev_b32_e32 v72, 3, v1
	global_load_dwordx4 v[36:39], v72, s[8:9] offset:240
	v_mul_u32_u24_sdwa v1, v4, s7 dst_sel:DWORD dst_unused:UNUSED_PAD src0_sel:WORD_0 src1_sel:DWORD
	v_lshrrev_b32_e32 v1, 21, v1
	v_mul_lo_u16_e32 v5, 36, v1
	v_sub_u16_e32 v5, v4, v5
	v_mul_u32_u24_e32 v40, 5, v5
	v_lshlrev_b32_e32 v74, 3, v40
	global_load_dwordx4 v[40:43], v74, s[8:9] offset:240
	global_load_dwordx4 v[44:47], v24, s[8:9] offset:256
	;; [unrolled: 1-line block ×5, first 2 shown]
	global_load_dwordx2 v[68:69], v24, s[8:9] offset:272
	global_load_dwordx2 v[70:71], v25, s[8:9] offset:272
	ds_read2_b64 v[60:63], v17 offset0:64 offset1:208
	global_load_dwordx2 v[72:73], v72, s[8:9] offset:272
	ds_read2_b64 v[64:67], v18 offset1:144
	v_lshlrev_b32_sdwa v0, v0, v27 dst_sel:DWORD dst_unused:UNUSED_PAD src0_sel:DWORD src1_sel:BYTE_0
	v_mul_u32_u24_e32 v26, 0x6c0, v26
	v_add3_u32 v0, 0, v26, v0
	v_mul_u32_u24_e32 v22, 0x6c0, v22
	v_lshlrev_b32_e32 v23, 3, v23
	v_mul_u32_u24_e32 v8, 0x6c0, v8
	v_lshlrev_b32_e32 v9, 3, v9
	s_movk_i32 s7, 0x48
	v_cmp_gt_u32_e32 vcc, s7, v12
	s_movk_i32 s7, 0x47
	s_waitcnt vmcnt(10) lgkmcnt(1)
	v_mul_f32_e32 v24, v29, v61
	v_fma_f32 v75, v28, v60, -v24
	s_waitcnt lgkmcnt(0)
	v_mul_f32_e32 v24, v31, v65
	v_fma_f32 v77, v30, v64, -v24
	v_mul_f32_e32 v64, v31, v64
	s_waitcnt vmcnt(9)
	v_mul_f32_e32 v24, v63, v33
	v_mul_f32_e32 v76, v29, v60
	v_fmac_f32_e32 v64, v30, v65
	v_fma_f32 v65, v62, v32, -v24
	v_mul_f32_e32 v78, v62, v33
	v_mul_f32_e32 v24, v67, v35
	v_fmac_f32_e32 v76, v28, v61
	v_fmac_f32_e32 v78, v63, v32
	ds_read2_b64 v[60:63], v21 offset0:96 offset1:240
	v_fma_f32 v79, v66, v34, -v24
	v_mul_f32_e32 v66, v66, v35
	v_fmac_f32_e32 v66, v67, v34
	ds_read2_b64 v[32:35], v6 offset0:32 offset1:176
	s_waitcnt vmcnt(8) lgkmcnt(1)
	v_mul_f32_e32 v24, v61, v37
	v_fma_f32 v30, v60, v36, -v24
	v_mul_f32_e32 v31, v60, v37
	s_waitcnt vmcnt(7)
	v_mul_f32_e32 v25, v62, v41
	s_waitcnt lgkmcnt(0)
	v_mul_f32_e32 v24, v33, v39
	v_fma_f32 v60, v32, v38, -v24
	v_mul_f32_e32 v24, v63, v41
	v_fma_f32 v24, v62, v40, -v24
	v_fmac_f32_e32 v25, v63, v40
	global_load_dwordx2 v[40:41], v74, s[8:9] offset:272
	v_fmac_f32_e32 v31, v61, v36
	v_mul_f32_e32 v61, v32, v39
	v_mul_f32_e32 v28, v35, v43
	ds_read2_b32 v[36:37], v13 offset1:1
	v_mul_f32_e32 v29, v34, v43
	v_fmac_f32_e32 v61, v33, v38
	v_fma_f32 v28, v34, v42, -v28
	v_fmac_f32_e32 v29, v35, v42
	ds_read2_b64 v[32:35], v20 offset0:64 offset1:208
	s_waitcnt vmcnt(7) lgkmcnt(1)
	v_mul_f32_e32 v38, v37, v47
	v_fma_f32 v42, v46, v36, -v38
	v_mul_f32_e32 v43, v47, v36
	v_fmac_f32_e32 v43, v37, v46
	s_waitcnt lgkmcnt(0)
	v_mul_f32_e32 v36, v45, v33
	v_fma_f32 v46, v44, v32, -v36
	v_mul_f32_e32 v45, v45, v32
	v_add_u32_e32 v32, 0x4c00, v16
	ds_read2_b64 v[36:39], v32 offset0:16 offset1:160
	s_waitcnt vmcnt(6)
	v_mul_f32_e32 v32, v35, v49
	v_fmac_f32_e32 v45, v44, v33
	v_fma_f32 v44, v34, v48, -v32
	v_mul_f32_e32 v47, v34, v49
	s_waitcnt lgkmcnt(0)
	v_mul_f32_e32 v32, v37, v51
	v_fmac_f32_e32 v47, v35, v48
	v_fma_f32 v48, v36, v50, -v32
	ds_read2_b64 v[32:35], v7 offset0:96 offset1:240
	v_mul_f32_e32 v49, v36, v51
	s_waitcnt vmcnt(5)
	v_mul_f32_e32 v36, v39, v55
	v_fmac_f32_e32 v49, v37, v50
	v_fma_f32 v50, v38, v54, -v36
	v_mul_f32_e32 v51, v38, v55
	s_waitcnt lgkmcnt(0)
	v_mul_f32_e32 v36, v33, v53
	v_fmac_f32_e32 v51, v39, v54
	v_fma_f32 v54, v32, v52, -v36
	v_mul_f32_e32 v53, v32, v53
	v_add_u32_e32 v32, 0x5400, v16
	ds_read2_b64 v[36:39], v32 offset0:48 offset1:192
	s_waitcnt vmcnt(4)
	v_mul_f32_e32 v32, v35, v57
	v_fmac_f32_e32 v53, v33, v52
	v_fma_f32 v52, v34, v56, -v32
	v_mul_f32_e32 v55, v34, v57
	s_waitcnt lgkmcnt(0)
	v_mul_f32_e32 v32, v37, v59
	v_fmac_f32_e32 v55, v35, v56
	v_fma_f32 v56, v36, v58, -v32
	v_add_u32_e32 v32, 0x5c00, v16
	ds_read2_b64 v[32:35], v32 offset0:80 offset1:224
	v_mul_f32_e32 v57, v36, v59
	s_waitcnt vmcnt(3)
	v_mul_f32_e32 v36, v39, v69
	v_fmac_f32_e32 v57, v37, v58
	v_fma_f32 v58, v38, v68, -v36
	v_mul_f32_e32 v59, v38, v69
	s_waitcnt vmcnt(2) lgkmcnt(0)
	v_mul_f32_e32 v36, v33, v71
	v_fmac_f32_e32 v59, v39, v68
	v_fma_f32 v62, v32, v70, -v36
	ds_read2_b64 v[36:39], v16 offset1:144
	s_waitcnt vmcnt(1)
	v_mul_f32_e32 v68, v34, v73
	v_mul_f32_e32 v63, v32, v71
	;; [unrolled: 1-line block ×3, first 2 shown]
	v_fmac_f32_e32 v68, v35, v72
	v_add_f32_e32 v35, v46, v58
	v_fma_f32 v67, v34, v72, -v32
	v_add_f32_e32 v34, v75, v46
	v_fmac_f32_e32 v75, -0.5, v35
	v_add_f32_e32 v35, v76, v45
	v_add_f32_e32 v72, v35, v59
	;; [unrolled: 1-line block ×3, first 2 shown]
	v_fmac_f32_e32 v63, v33, v70
	s_waitcnt lgkmcnt(0)
	v_add_f32_e32 v32, v37, v64
	v_add_f32_e32 v33, v36, v77
	v_fmac_f32_e32 v76, -0.5, v35
	v_add_f32_e32 v69, v32, v43
	v_sub_f32_e32 v70, v64, v43
	v_add_f32_e32 v32, v64, v43
	v_add_f32_e32 v64, v33, v42
	;; [unrolled: 1-line block ×3, first 2 shown]
	v_sub_f32_e32 v73, v45, v59
	v_add_f32_e32 v45, v34, v58
	v_sub_f32_e32 v46, v46, v58
	v_mov_b32_e32 v34, v75
	v_mov_b32_e32 v35, v76
	v_fmac_f32_e32 v34, 0x3f5db3d7, v73
	v_fmac_f32_e32 v35, 0xbf5db3d7, v46
	v_fma_f32 v74, -0.5, v33, v36
	v_fma_f32 v80, -0.5, v32, v37
	v_sub_f32_e32 v71, v77, v42
	v_mul_f32_e32 v58, 0x3f5db3d7, v35
	v_mul_f32_e32 v59, 0xbf5db3d7, v34
	v_mov_b32_e32 v77, v74
	v_mov_b32_e32 v81, v80
	v_fmac_f32_e32 v58, 0.5, v34
	v_fmac_f32_e32 v59, 0.5, v35
	v_fmac_f32_e32 v77, 0x3f5db3d7, v70
	v_fmac_f32_e32 v81, 0xbf5db3d7, v71
	v_add_f32_e32 v26, v64, v45
	v_add_f32_e32 v27, v69, v72
	;; [unrolled: 1-line block ×4, first 2 shown]
	v_fmac_f32_e32 v75, 0xbf5db3d7, v73
	v_fmac_f32_e32 v76, 0x3f5db3d7, v46
	ds_read_b64 v[42:43], v16 offset:26496
	ds_read2_b64 v[32:35], v10 offset0:32 offset1:176
	s_waitcnt vmcnt(0) lgkmcnt(0)
	s_barrier
	ds_write2_b64 v0, v[26:27], v[36:37] offset1:36
	v_sub_f32_e32 v26, v64, v45
	v_mul_f32_e32 v45, -0.5, v75
	v_mul_f32_e32 v46, -0.5, v76
	v_fmac_f32_e32 v74, 0xbf5db3d7, v70
	v_fmac_f32_e32 v80, 0x3f5db3d7, v71
	;; [unrolled: 1-line block ×4, first 2 shown]
	v_sub_f32_e32 v27, v69, v72
	v_add_f32_e32 v36, v74, v45
	v_add_f32_e32 v37, v80, v46
	ds_write2_b64 v0, v[36:37], v[26:27] offset0:72 offset1:108
	v_sub_f32_e32 v26, v77, v58
	v_sub_f32_e32 v27, v81, v59
	;; [unrolled: 1-line block ×4, first 2 shown]
	ds_write2_b64 v0, v[26:27], v[36:37] offset0:144 offset1:180
	v_add_f32_e32 v26, v66, v49
	v_add_f32_e32 v0, v39, v66
	v_fmac_f32_e32 v39, -0.5, v26
	v_add_f32_e32 v26, v38, v79
	v_add_f32_e32 v46, v44, v62
	;; [unrolled: 1-line block ×4, first 2 shown]
	v_sub_f32_e32 v45, v79, v48
	v_add_f32_e32 v27, v65, v44
	v_fmac_f32_e32 v65, -0.5, v46
	v_add_f32_e32 v46, v78, v47
	v_sub_f32_e32 v48, v47, v63
	v_add_f32_e32 v47, v47, v63
	v_fmac_f32_e32 v78, -0.5, v47
	v_add_f32_e32 v0, v0, v49
	v_sub_f32_e32 v36, v66, v49
	v_add_f32_e32 v47, v27, v62
	v_sub_f32_e32 v44, v44, v62
	v_mov_b32_e32 v27, v65
	v_mov_b32_e32 v49, v78
	v_fmac_f32_e32 v27, 0x3f5db3d7, v48
	v_fmac_f32_e32 v49, 0xbf5db3d7, v44
	v_fma_f32 v38, -0.5, v26, v38
	v_add_f32_e32 v46, v46, v63
	v_mul_f32_e32 v58, 0x3f5db3d7, v49
	v_mul_f32_e32 v59, 0xbf5db3d7, v27
	v_mov_b32_e32 v62, v38
	v_mov_b32_e32 v63, v39
	v_fmac_f32_e32 v58, 0.5, v27
	v_fmac_f32_e32 v59, 0.5, v49
	v_fmac_f32_e32 v62, 0x3f5db3d7, v36
	v_fmac_f32_e32 v63, 0xbf5db3d7, v45
	v_add3_u32 v49, 0, v22, v23
	v_add_f32_e32 v22, v37, v47
	v_add_f32_e32 v23, v0, v46
	;; [unrolled: 1-line block ×4, first 2 shown]
	v_fmac_f32_e32 v65, 0xbf5db3d7, v48
	v_fmac_f32_e32 v78, 0x3f5db3d7, v44
	ds_write2_b64 v49, v[22:23], v[26:27] offset1:36
	v_sub_f32_e32 v23, v0, v46
	v_fmac_f32_e32 v38, 0xbf5db3d7, v36
	v_mul_f32_e32 v0, -0.5, v65
	v_mul_f32_e32 v36, -0.5, v78
	v_fmac_f32_e32 v39, 0x3f5db3d7, v45
	v_fmac_f32_e32 v0, 0x3f5db3d7, v78
	;; [unrolled: 1-line block ×3, first 2 shown]
	v_sub_f32_e32 v22, v37, v47
	v_add_f32_e32 v26, v38, v0
	v_add_f32_e32 v27, v39, v36
	ds_write2_b64 v49, v[26:27], v[22:23] offset0:72 offset1:108
	v_sub_f32_e32 v22, v38, v0
	v_add_f32_e32 v38, v54, v67
	v_add_f32_e32 v44, v53, v68
	v_sub_f32_e32 v23, v39, v36
	v_sub_f32_e32 v26, v62, v58
	;; [unrolled: 1-line block ×3, first 2 shown]
	v_add_f32_e32 v37, v30, v54
	v_fmac_f32_e32 v30, -0.5, v38
	v_add_f32_e32 v38, v31, v53
	v_fmac_f32_e32 v31, -0.5, v44
	ds_write2_b64 v49, v[26:27], v[22:23] offset0:144 offset1:180
	v_add_f32_e32 v23, v32, v60
	v_sub_f32_e32 v44, v54, v67
	v_mov_b32_e32 v46, v31
	v_add_f32_e32 v22, v61, v51
	v_add_f32_e32 v27, v23, v50
	;; [unrolled: 1-line block ×3, first 2 shown]
	v_sub_f32_e32 v39, v53, v68
	v_mov_b32_e32 v45, v30
	v_fmac_f32_e32 v46, 0xbf5db3d7, v44
	v_add_f32_e32 v0, v33, v61
	v_fmac_f32_e32 v45, 0x3f5db3d7, v39
	v_mul_f32_e32 v47, 0x3f5db3d7, v46
	v_fma_f32 v32, -0.5, v23, v32
	v_fma_f32 v33, -0.5, v22, v33
	v_sub_f32_e32 v26, v61, v51
	v_sub_f32_e32 v36, v60, v50
	v_fmac_f32_e32 v47, 0.5, v45
	v_mul_f32_e32 v45, 0xbf5db3d7, v45
	v_mov_b32_e32 v48, v32
	v_mov_b32_e32 v49, v33
	v_add_f32_e32 v0, v0, v51
	v_add_f32_e32 v38, v38, v68
	;; [unrolled: 1-line block ×3, first 2 shown]
	v_fmac_f32_e32 v45, 0.5, v46
	v_fmac_f32_e32 v48, 0x3f5db3d7, v26
	v_fmac_f32_e32 v49, 0xbf5db3d7, v36
	v_add3_u32 v46, 0, v8, v9
	v_add_f32_e32 v8, v27, v37
	v_add_f32_e32 v9, v0, v38
	;; [unrolled: 1-line block ×4, first 2 shown]
	v_fmac_f32_e32 v30, 0xbf5db3d7, v39
	v_fmac_f32_e32 v31, 0x3f5db3d7, v44
	ds_write2_b64 v46, v[8:9], v[22:23] offset1:36
	v_sub_f32_e32 v9, v0, v38
	v_fmac_f32_e32 v32, 0xbf5db3d7, v26
	v_mul_f32_e32 v0, -0.5, v30
	v_mul_f32_e32 v26, -0.5, v31
	v_fmac_f32_e32 v33, 0x3f5db3d7, v36
	v_fmac_f32_e32 v0, 0x3f5db3d7, v31
	v_fmac_f32_e32 v26, 0xbf5db3d7, v30
	v_sub_f32_e32 v8, v27, v37
	v_add_f32_e32 v22, v32, v0
	v_add_f32_e32 v23, v33, v26
	ds_write2_b64 v46, v[22:23], v[8:9] offset0:72 offset1:108
	v_sub_f32_e32 v8, v48, v47
	v_sub_f32_e32 v9, v49, v45
	;; [unrolled: 1-line block ×4, first 2 shown]
	ds_write2_b64 v46, v[8:9], v[22:23] offset0:144 offset1:180
	v_mul_f32_e32 v0, v43, v41
	v_add_f32_e32 v9, v35, v29
	v_fma_f32 v0, v42, v40, -v0
	v_add_f32_e32 v22, v9, v57
	v_add_f32_e32 v9, v29, v57
	v_mul_f32_e32 v8, v42, v41
	v_sub_f32_e32 v23, v29, v57
	v_fmac_f32_e32 v35, -0.5, v9
	v_add_f32_e32 v9, v34, v28
	v_add_f32_e32 v29, v52, v0
	v_fmac_f32_e32 v8, v43, v40
	v_add_f32_e32 v26, v9, v56
	v_add_f32_e32 v9, v28, v56
	v_sub_f32_e32 v27, v28, v56
	v_add_f32_e32 v28, v24, v52
	v_fmac_f32_e32 v24, -0.5, v29
	v_add_f32_e32 v29, v25, v55
	v_add_f32_e32 v29, v29, v8
	v_sub_f32_e32 v30, v55, v8
	v_add_f32_e32 v8, v55, v8
	v_fmac_f32_e32 v25, -0.5, v8
	v_add_f32_e32 v28, v28, v0
	v_sub_f32_e32 v31, v52, v0
	v_mov_b32_e32 v0, v24
	v_mov_b32_e32 v8, v25
	v_fmac_f32_e32 v0, 0x3f5db3d7, v30
	v_fmac_f32_e32 v8, 0xbf5db3d7, v31
	v_fma_f32 v34, -0.5, v9, v34
	v_mul_f32_e32 v32, 0x3f5db3d7, v8
	v_mul_f32_e32 v33, 0xbf5db3d7, v0
	v_mov_b32_e32 v36, v34
	v_mov_b32_e32 v37, v35
	v_fmac_f32_e32 v32, 0.5, v0
	v_fmac_f32_e32 v33, 0.5, v8
	v_mul_u32_u24_e32 v0, 0x6c0, v1
	v_lshlrev_b32_e32 v1, 3, v5
	v_fmac_f32_e32 v36, 0x3f5db3d7, v23
	v_fmac_f32_e32 v37, 0xbf5db3d7, v27
	v_add3_u32 v5, 0, v0, v1
	v_add_f32_e32 v0, v26, v28
	v_add_f32_e32 v1, v22, v29
	;; [unrolled: 1-line block ×4, first 2 shown]
	v_fmac_f32_e32 v24, 0xbf5db3d7, v30
	v_fmac_f32_e32 v25, 0x3f5db3d7, v31
	ds_write2_b64 v5, v[0:1], v[8:9] offset1:36
	v_sub_f32_e32 v1, v22, v29
	v_fmac_f32_e32 v34, 0xbf5db3d7, v23
	v_mul_f32_e32 v22, -0.5, v24
	v_mul_f32_e32 v23, -0.5, v25
	v_fmac_f32_e32 v35, 0x3f5db3d7, v27
	v_fmac_f32_e32 v22, 0x3f5db3d7, v25
	;; [unrolled: 1-line block ×3, first 2 shown]
	v_sub_f32_e32 v0, v26, v28
	v_add_f32_e32 v8, v34, v22
	v_add_f32_e32 v9, v35, v23
	ds_write2_b64 v5, v[8:9], v[0:1] offset0:72 offset1:108
	v_sub_f32_e32 v1, v35, v23
	v_sub_f32_e32 v0, v34, v22
	;; [unrolled: 1-line block ×4, first 2 shown]
	ds_write2_b64 v5, v[8:9], v[0:1] offset0:144 offset1:180
	v_mul_u32_u24_e32 v0, 3, v12
	v_lshlrev_b32_e32 v8, 3, v0
	v_add_u32_e32 v0, 0xffffffb8, v12
	v_cndmask_b32_e32 v9, v0, v3, vcc
	v_mov_b32_e32 v1, 0
	v_mul_i32_i24_e32 v0, 3, v9
	s_waitcnt lgkmcnt(0)
	s_barrier
	global_load_dwordx4 v[22:25], v8, s[8:9] offset:1680
	v_lshlrev_b64 v[26:27], 3, v[0:1]
	v_mov_b32_e32 v5, s9
	v_add_co_u32_e32 v46, vcc, s8, v26
	v_addc_co_u32_e32 v47, vcc, v5, v27, vcc
	global_load_dwordx4 v[26:29], v[46:47], off offset:1680
	global_load_dwordx4 v[30:33], v8, s[8:9] offset:3408
	v_lshrrev_b16_e32 v0, 3, v4
	v_mul_u32_u24_e32 v0, 0x12f7, v0
	v_lshrrev_b32_e32 v0, 17, v0
	v_mul_lo_u16_e32 v0, 0xd8, v0
	v_sub_u16_e32 v0, v4, v0
	v_mul_u32_u24_e32 v4, 3, v0
	v_add_u16_e32 v38, 0x240, v12
	v_lshlrev_b32_e32 v4, 3, v4
	v_lshrrev_b16_e32 v39, 3, v38
	global_load_dwordx4 v[34:37], v4, s[8:9] offset:1680
	v_mul_u32_u24_e32 v39, 0x12f7, v39
	v_lshrrev_b32_e32 v66, 17, v39
	v_mul_lo_u16_e32 v39, 0xd8, v66
	v_sub_u16_e32 v67, v38, v39
	v_mul_u32_u24_e32 v38, 3, v67
	v_lshlrev_b32_e32 v48, 3, v38
	global_load_dwordx4 v[38:41], v48, s[8:9] offset:1680
	v_add_u16_e32 v42, 0x2d0, v12
	v_lshrrev_b16_e32 v43, 3, v42
	v_mul_u32_u24_e32 v43, 0x12f7, v43
	v_lshrrev_b32_e32 v43, 17, v43
	v_mul_lo_u16_e32 v43, 0xd8, v43
	v_sub_u16_e32 v68, v42, v43
	v_mul_u32_u24_e32 v42, 3, v68
	v_lshlrev_b32_e32 v50, 3, v42
	global_load_dwordx4 v[42:45], v50, s[8:9] offset:1680
	global_load_dwordx2 v[54:55], v8, s[8:9] offset:1696
	global_load_dwordx2 v[56:57], v[46:47], off offset:1696
	global_load_dwordx2 v[58:59], v8, s[8:9] offset:3424
	global_load_dwordx2 v[60:61], v4, s[8:9] offset:1696
	;; [unrolled: 1-line block ×4, first 2 shown]
	ds_read2_b64 v[46:49], v21 offset0:96 offset1:240
	ds_read2_b64 v[50:53], v20 offset0:64 offset1:208
	v_cmp_lt_u32_e32 vcc, s7, v12
	v_lshlrev_b32_e32 v9, 3, v9
	v_lshl_add_u32 v0, v0, 3, 0
	v_mul_u32_u24_e32 v3, 3, v3
	s_waitcnt vmcnt(11) lgkmcnt(1)
	v_mul_f32_e32 v4, v23, v47
	v_fma_f32 v4, v22, v46, -v4
	v_mul_f32_e32 v46, v23, v46
	v_fmac_f32_e32 v46, v22, v47
	s_waitcnt lgkmcnt(0)
	v_mul_f32_e32 v22, v25, v51
	v_fma_f32 v47, v24, v50, -v22
	v_mul_f32_e32 v50, v25, v50
	s_waitcnt vmcnt(10)
	v_mul_f32_e32 v22, v49, v27
	v_fmac_f32_e32 v50, v24, v51
	v_fma_f32 v51, v48, v26, -v22
	v_mul_f32_e32 v48, v48, v27
	v_fmac_f32_e32 v48, v49, v26
	v_mul_f32_e32 v26, v53, v29
	ds_read2_b64 v[22:25], v18 offset1:144
	v_fma_f32 v49, v52, v28, -v26
	v_mul_f32_e32 v52, v52, v29
	v_fmac_f32_e32 v52, v53, v28
	ds_read2_b64 v[26:29], v7 offset0:96 offset1:240
	s_waitcnt vmcnt(9) lgkmcnt(1)
	v_mul_f32_e32 v53, v23, v31
	v_fma_f32 v53, v22, v30, -v53
	v_mul_f32_e32 v69, v22, v31
	s_waitcnt vmcnt(8)
	v_mul_f32_e32 v73, v24, v35
	s_waitcnt lgkmcnt(0)
	v_mul_f32_e32 v22, v27, v33
	v_fma_f32 v70, v26, v32, -v22
	v_mul_f32_e32 v22, v25, v35
	v_fmac_f32_e32 v69, v23, v30
	v_mul_f32_e32 v71, v26, v33
	v_fma_f32 v72, v24, v34, -v22
	v_fmac_f32_e32 v73, v25, v34
	v_mul_f32_e32 v26, v29, v37
	ds_read2_b64 v[22:25], v6 offset0:32 offset1:176
	v_mul_f32_e32 v75, v28, v37
	v_fmac_f32_e32 v71, v27, v32
	v_fma_f32 v74, v28, v36, -v26
	v_fmac_f32_e32 v75, v29, v36
	ds_read2_b64 v[26:29], v13 offset1:144
	s_waitcnt vmcnt(7) lgkmcnt(1)
	v_mul_f32_e32 v30, v23, v39
	v_fma_f32 v76, v22, v38, -v30
	v_mul_f32_e32 v39, v22, v39
	v_fmac_f32_e32 v39, v23, v38
	s_waitcnt lgkmcnt(0)
	v_mul_f32_e32 v22, v27, v41
	v_fma_f32 v38, v26, v40, -v22
	v_mul_f32_e32 v41, v26, v41
	s_waitcnt vmcnt(6)
	v_mul_f32_e32 v22, v25, v43
	v_mul_f32_e32 v43, v24, v43
	v_fmac_f32_e32 v41, v27, v40
	v_fma_f32 v40, v24, v42, -v22
	v_fmac_f32_e32 v43, v25, v42
	ds_read2_b64 v[22:25], v11 offset0:32 offset1:176
	v_mul_f32_e32 v26, v29, v45
	v_fma_f32 v42, v28, v44, -v26
	v_mul_f32_e32 v45, v28, v45
	v_fmac_f32_e32 v45, v29, v44
	s_waitcnt vmcnt(5) lgkmcnt(0)
	v_mul_f32_e32 v26, v55, v23
	v_fma_f32 v30, v54, v22, -v26
	ds_read2_b64 v[26:29], v19 offset0:64 offset1:208
	v_mul_f32_e32 v31, v55, v22
	s_waitcnt vmcnt(4)
	v_mul_f32_e32 v22, v25, v57
	v_fmac_f32_e32 v31, v54, v23
	v_fma_f32 v44, v24, v56, -v22
	v_mul_f32_e32 v54, v24, v57
	s_waitcnt vmcnt(3) lgkmcnt(0)
	v_mul_f32_e32 v22, v27, v59
	v_fmac_f32_e32 v54, v25, v56
	v_fma_f32 v55, v26, v58, -v22
	ds_read2_b64 v[22:25], v2 offset0:96 offset1:240
	v_mul_f32_e32 v56, v26, v59
	s_waitcnt vmcnt(2)
	v_mul_f32_e32 v26, v29, v61
	v_fmac_f32_e32 v56, v27, v58
	v_fma_f32 v57, v28, v60, -v26
	v_mul_f32_e32 v58, v28, v61
	s_waitcnt vmcnt(1) lgkmcnt(0)
	v_mul_f32_e32 v26, v23, v63
	v_fmac_f32_e32 v58, v29, v60
	v_fma_f32 v59, v22, v62, -v26
	ds_read2_b64 v[26:29], v16 offset1:144
	v_mul_f32_e32 v60, v22, v63
	s_waitcnt vmcnt(0)
	v_mul_f32_e32 v22, v25, v65
	v_fmac_f32_e32 v60, v23, v62
	v_fma_f32 v61, v24, v64, -v22
	v_mul_f32_e32 v62, v24, v65
	s_waitcnt lgkmcnt(0)
	v_sub_f32_e32 v47, v26, v47
	v_sub_f32_e32 v50, v27, v50
	;; [unrolled: 1-line block ×4, first 2 shown]
	v_fmac_f32_e32 v62, v25, v64
	v_fma_f32 v4, v4, 2.0, -v22
	v_fma_f32 v24, v46, 2.0, -v23
	;; [unrolled: 1-line block ×4, first 2 shown]
	v_sub_f32_e32 v26, v25, v4
	v_sub_f32_e32 v27, v30, v24
	;; [unrolled: 1-line block ×3, first 2 shown]
	v_add_f32_e32 v37, v50, v22
	v_add_u32_e32 v4, 0xd00, v16
	v_fma_f32 v34, v25, 2.0, -v26
	v_fma_f32 v35, v30, 2.0, -v27
	ds_read2_b64 v[22:25], v10 offset0:32 offset1:176
	ds_read2_b64 v[30:33], v17 offset0:64 offset1:208
	s_waitcnt lgkmcnt(0)
	s_barrier
	ds_write2_b64 v4, v[26:27], v[36:37] offset0:16 offset1:232
	v_fma_f32 v26, v47, 2.0, -v36
	v_fma_f32 v27, v50, 2.0, -v37
	ds_write2_b64 v16, v[34:35], v[26:27] offset1:216
	v_sub_f32_e32 v4, v28, v49
	v_sub_f32_e32 v34, v48, v54
	;; [unrolled: 1-line block ×4, first 2 shown]
	v_fma_f32 v27, v48, 2.0, -v34
	v_sub_f32_e32 v34, v4, v34
	v_fma_f32 v28, v28, 2.0, -v4
	v_fma_f32 v29, v29, 2.0, -v37
	;; [unrolled: 1-line block ×4, first 2 shown]
	v_mov_b32_e32 v4, 0x1b00
	v_sub_f32_e32 v26, v28, v26
	v_sub_f32_e32 v27, v29, v27
	v_add_f32_e32 v35, v37, v35
	v_cndmask_b32_e32 v4, 0, v4, vcc
	v_fma_f32 v28, v28, 2.0, -v26
	v_fma_f32 v29, v29, 2.0, -v27
	;; [unrolled: 1-line block ×3, first 2 shown]
	v_add3_u32 v4, 0, v4, v9
	ds_write2_b64 v4, v[28:29], v[36:37] offset1:216
	v_add_u32_e32 v4, 0xd00, v4
	ds_write2_b64 v4, v[26:27], v[34:35] offset0:16 offset1:232
	v_sub_f32_e32 v4, v22, v70
	v_sub_f32_e32 v9, v23, v71
	;; [unrolled: 1-line block ×4, first 2 shown]
	v_fma_f32 v26, v53, 2.0, -v29
	v_fma_f32 v27, v69, 2.0, -v28
	v_fma_f32 v34, v22, 2.0, -v4
	v_fma_f32 v35, v23, 2.0, -v9
	v_sub_f32_e32 v22, v34, v26
	v_sub_f32_e32 v23, v35, v27
	;; [unrolled: 1-line block ×3, first 2 shown]
	v_add_f32_e32 v29, v9, v29
	v_fma_f32 v26, v34, 2.0, -v22
	v_fma_f32 v27, v35, 2.0, -v23
	;; [unrolled: 1-line block ×4, first 2 shown]
	v_add_u32_e32 v4, 0x1d00, v16
	ds_write2_b64 v4, v[26:27], v[34:35] offset0:8 offset1:224
	v_add_u32_e32 v4, 0x2a00, v16
	ds_write2_b64 v4, v[22:23], v[28:29] offset0:24 offset1:240
	v_sub_f32_e32 v4, v24, v74
	v_sub_f32_e32 v9, v25, v75
	;; [unrolled: 1-line block ×4, first 2 shown]
	v_fma_f32 v24, v24, 2.0, -v4
	v_fma_f32 v25, v25, 2.0, -v9
	;; [unrolled: 1-line block ×4, first 2 shown]
	v_sub_f32_e32 v22, v24, v22
	v_sub_f32_e32 v23, v25, v23
	;; [unrolled: 1-line block ×3, first 2 shown]
	v_add_f32_e32 v27, v9, v27
	v_fma_f32 v24, v24, 2.0, -v22
	v_fma_f32 v25, v25, 2.0, -v23
	;; [unrolled: 1-line block ×4, first 2 shown]
	v_add_u32_e32 v4, 0x3600, v0
	v_add_u32_e32 v0, 0x4300, v0
	ds_write2_b64 v4, v[24:25], v[28:29] offset1:216
	ds_write2_b64 v0, v[22:23], v[26:27] offset0:16 offset1:232
	v_sub_f32_e32 v0, v30, v38
	v_sub_f32_e32 v4, v31, v41
	;; [unrolled: 1-line block ×4, first 2 shown]
	v_fma_f32 v22, v76, 2.0, -v9
	v_fma_f32 v23, v39, 2.0, -v26
	;; [unrolled: 1-line block ×4, first 2 shown]
	v_sub_f32_e32 v26, v0, v26
	v_add_f32_e32 v27, v4, v9
	v_sub_f32_e32 v22, v24, v22
	v_sub_f32_e32 v23, v25, v23
	v_fma_f32 v28, v0, 2.0, -v26
	v_fma_f32 v29, v4, 2.0, -v27
	v_mul_u32_u24_e32 v0, 0x1b00, v66
	v_lshlrev_b32_e32 v4, 3, v67
	v_fma_f32 v24, v24, 2.0, -v22
	v_fma_f32 v25, v25, 2.0, -v23
	v_add3_u32 v0, 0, v0, v4
	ds_write2_b64 v0, v[24:25], v[28:29] offset1:216
	v_add_u32_e32 v0, 0xd00, v0
	ds_write2_b64 v0, v[22:23], v[26:27] offset0:16 offset1:232
	v_sub_f32_e32 v0, v32, v42
	v_sub_f32_e32 v26, v43, v62
	;; [unrolled: 1-line block ×4, first 2 shown]
	v_fma_f32 v23, v43, 2.0, -v26
	v_sub_f32_e32 v26, v0, v26
	v_fma_f32 v9, v32, 2.0, -v0
	v_fma_f32 v25, v33, 2.0, -v4
	;; [unrolled: 1-line block ×3, first 2 shown]
	v_add_f32_e32 v27, v4, v27
	v_fma_f32 v28, v0, 2.0, -v26
	v_lshl_add_u32 v0, v68, 3, 0
	v_sub_f32_e32 v22, v9, v22
	v_sub_f32_e32 v23, v25, v23
	v_fma_f32 v29, v4, 2.0, -v27
	v_add_u32_e32 v4, 0x5000, v0
	v_add_u32_e32 v0, 0x5e00, v0
	ds_write2_b64 v0, v[22:23], v[26:27] offset0:16 offset1:232
	v_add_co_u32_e32 v0, vcc, s8, v8
	v_addc_co_u32_e32 v50, vcc, 0, v5, vcc
	v_add_co_u32_e32 v8, vcc, s4, v0
	v_fma_f32 v24, v9, 2.0, -v22
	v_fma_f32 v25, v25, 2.0, -v23
	v_addc_co_u32_e32 v9, vcc, 0, v50, vcc
	ds_write2_b64 v4, v[24:25], v[28:29] offset0:32 offset1:248
	s_waitcnt lgkmcnt(0)
	s_barrier
	global_load_dwordx4 v[22:25], v[8:9], off offset:2768
	v_lshlrev_b32_e32 v8, 3, v3
	v_add_co_u32_e32 v52, vcc, s8, v8
	v_addc_co_u32_e32 v53, vcc, 0, v5, vcc
	v_add_co_u32_e32 v3, vcc, s4, v52
	v_addc_co_u32_e32 v4, vcc, 0, v53, vcc
	global_load_dwordx4 v[26:29], v[3:4], off offset:2768
	v_add_co_u32_e32 v3, vcc, s5, v52
	v_addc_co_u32_e32 v4, vcc, 0, v53, vcc
	global_load_dwordx4 v[30:33], v[3:4], off offset:2128
	;; [unrolled: 3-line block ×3, first 2 shown]
	v_add_u32_e32 v3, 0x2880, v8
	v_add_co_u32_e32 v58, vcc, s8, v3
	v_addc_co_u32_e32 v59, vcc, 0, v5, vcc
	v_add_co_u32_e32 v3, vcc, s4, v58
	v_addc_co_u32_e32 v4, vcc, 0, v59, vcc
	global_load_dwordx4 v[42:45], v[3:4], off offset:2768
	v_add_u32_e32 v3, 0x3600, v8
	v_add_co_u32_e32 v60, vcc, s8, v3
	v_addc_co_u32_e32 v5, vcc, 0, v5, vcc
	v_add_co_u32_e32 v3, vcc, s4, v60
	v_addc_co_u32_e32 v4, vcc, 0, v5, vcc
	global_load_dwordx4 v[46:49], v[3:4], off offset:2768
	s_movk_i32 s4, 0x1ad0
	v_add_co_u32_e32 v3, vcc, s4, v0
	v_addc_co_u32_e32 v4, vcc, 0, v50, vcc
	global_load_dwordx2 v[3:4], v[3:4], off offset:16
	v_add_co_u32_e32 v8, vcc, s4, v52
	v_addc_co_u32_e32 v9, vcc, 0, v53, vcc
	global_load_dwordx2 v[8:9], v[8:9], off offset:16
	s_movk_i32 s5, 0x2850
	v_add_co_u32_e32 v50, vcc, s5, v52
	v_addc_co_u32_e32 v51, vcc, 0, v53, vcc
	global_load_dwordx2 v[54:55], v[50:51], off offset:16
	s_movk_i32 s5, 0x35d0
	v_add_co_u32_e32 v50, vcc, s5, v52
	v_addc_co_u32_e32 v51, vcc, 0, v53, vcc
	global_load_dwordx2 v[56:57], v[50:51], off offset:16
	v_add_co_u32_e32 v50, vcc, s4, v58
	v_addc_co_u32_e32 v51, vcc, 0, v59, vcc
	global_load_dwordx2 v[58:59], v[50:51], off offset:16
	;; [unrolled: 3-line block ×3, first 2 shown]
	ds_read2_b64 v[38:41], v21 offset0:96 offset1:240
	ds_read2_b64 v[50:53], v20 offset0:64 offset1:208
	s_waitcnt vmcnt(11) lgkmcnt(1)
	v_mul_f32_e32 v0, v23, v39
	v_mul_f32_e32 v5, v23, v38
	v_fma_f32 v0, v22, v38, -v0
	v_fmac_f32_e32 v5, v22, v39
	s_waitcnt lgkmcnt(0)
	v_mul_f32_e32 v22, v25, v51
	v_fma_f32 v38, v24, v50, -v22
	v_mul_f32_e32 v39, v25, v50
	v_fmac_f32_e32 v39, v24, v51
	s_waitcnt vmcnt(10)
	v_mul_f32_e32 v22, v41, v27
	v_fma_f32 v50, v40, v26, -v22
	v_mul_f32_e32 v40, v40, v27
	v_fmac_f32_e32 v40, v41, v26
	v_mul_f32_e32 v26, v53, v29
	ds_read2_b64 v[22:25], v18 offset1:144
	v_mul_f32_e32 v51, v52, v29
	v_fma_f32 v41, v52, v28, -v26
	v_fmac_f32_e32 v51, v53, v28
	ds_read2_b64 v[26:29], v7 offset0:96 offset1:240
	s_waitcnt vmcnt(9) lgkmcnt(1)
	v_mul_f32_e32 v52, v23, v31
	v_fma_f32 v52, v22, v30, -v52
	v_mul_f32_e32 v53, v22, v31
	s_waitcnt vmcnt(8)
	v_mul_f32_e32 v65, v24, v35
	s_waitcnt lgkmcnt(0)
	v_mul_f32_e32 v22, v27, v33
	v_fma_f32 v62, v26, v32, -v22
	v_mul_f32_e32 v22, v25, v35
	v_fmac_f32_e32 v53, v23, v30
	v_mul_f32_e32 v63, v26, v33
	v_fma_f32 v64, v24, v34, -v22
	v_fmac_f32_e32 v65, v25, v34
	v_mul_f32_e32 v26, v29, v37
	ds_read2_b64 v[22:25], v6 offset0:32 offset1:176
	v_mul_f32_e32 v67, v28, v37
	v_fmac_f32_e32 v63, v27, v32
	v_fma_f32 v66, v28, v36, -v26
	v_fmac_f32_e32 v67, v29, v36
	ds_read2_b64 v[26:29], v13 offset1:144
	s_waitcnt vmcnt(7) lgkmcnt(1)
	v_mul_f32_e32 v30, v23, v43
	v_fma_f32 v68, v22, v42, -v30
	v_mul_f32_e32 v43, v22, v43
	v_fmac_f32_e32 v43, v23, v42
	s_waitcnt lgkmcnt(0)
	v_mul_f32_e32 v22, v27, v45
	v_fma_f32 v42, v26, v44, -v22
	v_mul_f32_e32 v45, v26, v45
	s_waitcnt vmcnt(6)
	v_mul_f32_e32 v22, v25, v47
	v_mul_f32_e32 v47, v24, v47
	v_fmac_f32_e32 v45, v27, v44
	v_fma_f32 v44, v24, v46, -v22
	v_fmac_f32_e32 v47, v25, v46
	ds_read2_b64 v[22:25], v11 offset0:32 offset1:176
	v_mul_f32_e32 v26, v29, v49
	v_fma_f32 v46, v28, v48, -v26
	v_mul_f32_e32 v49, v28, v49
	v_fmac_f32_e32 v49, v29, v48
	s_waitcnt vmcnt(5) lgkmcnt(0)
	v_mul_f32_e32 v26, v4, v23
	v_fma_f32 v30, v3, v22, -v26
	ds_read2_b64 v[26:29], v19 offset0:64 offset1:208
	v_mul_f32_e32 v4, v4, v22
	v_fmac_f32_e32 v4, v3, v23
	s_waitcnt vmcnt(4)
	v_mul_f32_e32 v3, v25, v9
	v_fma_f32 v31, v24, v8, -v3
	s_waitcnt vmcnt(3) lgkmcnt(0)
	v_mul_f32_e32 v3, v27, v55
	v_mul_f32_e32 v32, v24, v9
	v_fma_f32 v48, v26, v54, -v3
	v_mul_f32_e32 v55, v26, v55
	s_waitcnt vmcnt(2)
	v_mul_f32_e32 v3, v29, v57
	v_mul_f32_e32 v57, v28, v57
	v_fmac_f32_e32 v32, v25, v8
	v_fmac_f32_e32 v55, v27, v54
	ds_read2_b64 v[22:25], v2 offset0:96 offset1:240
	v_fma_f32 v54, v28, v56, -v3
	v_fmac_f32_e32 v57, v29, v56
	ds_read2_b64 v[26:29], v16 offset1:144
	s_waitcnt vmcnt(1) lgkmcnt(1)
	v_mul_f32_e32 v3, v23, v59
	v_fma_f32 v56, v22, v58, -v3
	v_mul_f32_e32 v59, v22, v59
	s_waitcnt lgkmcnt(0)
	v_sub_f32_e32 v34, v26, v38
	v_sub_f32_e32 v38, v0, v30
	s_waitcnt vmcnt(0)
	v_mul_f32_e32 v3, v25, v61
	v_sub_f32_e32 v35, v27, v39
	v_fma_f32 v8, v26, 2.0, -v34
	v_sub_f32_e32 v39, v5, v4
	v_fma_f32 v0, v0, 2.0, -v38
	v_fmac_f32_e32 v59, v23, v58
	v_fma_f32 v58, v24, v60, -v3
	v_mul_f32_e32 v61, v24, v61
	v_sub_f32_e32 v36, v28, v41
	v_sub_f32_e32 v37, v29, v51
	v_fma_f32 v4, v5, 2.0, -v39
	v_sub_f32_e32 v3, v8, v0
	v_sub_f32_e32 v0, v50, v31
	;; [unrolled: 1-line block ×3, first 2 shown]
	v_fmac_f32_e32 v61, v25, v60
	v_fma_f32 v9, v27, 2.0, -v35
	v_fma_f32 v22, v28, 2.0, -v36
	;; [unrolled: 1-line block ×5, first 2 shown]
	v_sub_f32_e32 v4, v9, v4
	v_sub_f32_e32 v30, v22, v24
	;; [unrolled: 1-line block ×3, first 2 shown]
	v_fma_f32 v8, v8, 2.0, -v3
	v_fma_f32 v9, v9, 2.0, -v4
	;; [unrolled: 1-line block ×4, first 2 shown]
	ds_read2_b64 v[22:25], v10 offset0:32 offset1:176
	ds_read2_b64 v[26:29], v17 offset0:64 offset1:208
	s_waitcnt lgkmcnt(0)
	s_barrier
	ds_write2_b64 v16, v[8:9], v[32:33] offset1:144
	v_sub_f32_e32 v8, v34, v39
	v_add_f32_e32 v9, v35, v38
	v_fma_f32 v32, v34, 2.0, -v8
	v_fma_f32 v33, v35, 2.0, -v9
	v_sub_f32_e32 v34, v36, v5
	v_add_f32_e32 v35, v37, v0
	v_fma_f32 v36, v36, 2.0, -v34
	v_fma_f32 v37, v37, 2.0, -v35
	ds_write2_b64 v21, v[32:33], v[36:37] offset0:96 offset1:240
	ds_write2_b64 v20, v[3:4], v[30:31] offset0:64 offset1:208
	;; [unrolled: 1-line block ×3, first 2 shown]
	v_sub_f32_e32 v5, v23, v63
	v_sub_f32_e32 v16, v24, v66
	;; [unrolled: 1-line block ×4, first 2 shown]
	v_fma_f32 v9, v23, 2.0, -v5
	v_fma_f32 v11, v24, 2.0, -v16
	;; [unrolled: 1-line block ×3, first 2 shown]
	v_sub_f32_e32 v24, v52, v48
	v_sub_f32_e32 v25, v53, v55
	;; [unrolled: 1-line block ×4, first 2 shown]
	v_fma_f32 v8, v22, 2.0, -v0
	v_fma_f32 v3, v52, 2.0, -v24
	;; [unrolled: 1-line block ×5, first 2 shown]
	v_sub_f32_e32 v3, v8, v3
	v_sub_f32_e32 v4, v9, v4
	;; [unrolled: 1-line block ×4, first 2 shown]
	v_fma_f32 v8, v8, 2.0, -v3
	v_fma_f32 v9, v9, 2.0, -v4
	;; [unrolled: 1-line block ×4, first 2 shown]
	ds_write2_b64 v10, v[8:9], v[22:23] offset0:32 offset1:176
	v_sub_f32_e32 v8, v0, v25
	v_add_f32_e32 v9, v5, v24
	v_sub_f32_e32 v22, v16, v32
	v_add_f32_e32 v23, v30, v31
	v_fma_f32 v10, v0, 2.0, -v8
	v_fma_f32 v11, v5, 2.0, -v9
	;; [unrolled: 1-line block ×4, first 2 shown]
	ds_write2_b64 v18, v[10:11], v[24:25] offset1:144
	ds_write2_b64 v7, v[3:4], v[20:21] offset0:96 offset1:240
	ds_write2_b64 v19, v[8:9], v[22:23] offset0:64 offset1:208
	v_sub_f32_e32 v0, v26, v42
	v_sub_f32_e32 v5, v27, v45
	;; [unrolled: 1-line block ×8, first 2 shown]
	v_fma_f32 v7, v26, 2.0, -v0
	v_fma_f32 v8, v27, 2.0, -v5
	;; [unrolled: 1-line block ×8, first 2 shown]
	v_sub_f32_e32 v3, v7, v3
	v_sub_f32_e32 v4, v8, v4
	;; [unrolled: 1-line block ×4, first 2 shown]
	v_fma_f32 v7, v7, 2.0, -v3
	v_fma_f32 v8, v8, 2.0, -v4
	;; [unrolled: 1-line block ×4, first 2 shown]
	ds_write2_b64 v17, v[7:8], v[18:19] offset0:64 offset1:208
	v_sub_f32_e32 v7, v0, v22
	v_add_f32_e32 v8, v5, v20
	v_sub_f32_e32 v18, v11, v24
	v_add_f32_e32 v19, v21, v23
	v_fma_f32 v16, v0, 2.0, -v7
	v_fma_f32 v17, v5, 2.0, -v8
	v_fma_f32 v20, v11, 2.0, -v18
	v_fma_f32 v21, v21, 2.0, -v19
	ds_write2_b64 v6, v[16:17], v[20:21] offset0:32 offset1:176
	ds_write2_b64 v13, v[3:4], v[9:10] offset1:144
	ds_write2_b64 v2, v[7:8], v[18:19] offset0:96 offset1:240
	s_waitcnt lgkmcnt(0)
	s_barrier
	s_and_saveexec_b64 s[4:5], s[0:1]
	s_cbranch_execz .LBB0_19
; %bb.18:
	v_lshl_add_u32 v8, v12, 3, 0
	v_mov_b32_e32 v13, v1
	ds_read2_b64 v[2:5], v8 offset1:144
	v_mov_b32_e32 v0, s3
	v_add_co_u32_e32 v9, vcc, s2, v14
	v_lshlrev_b64 v[6:7], 3, v[12:13]
	v_addc_co_u32_e32 v10, vcc, v0, v15, vcc
	v_add_co_u32_e32 v6, vcc, v9, v6
	v_addc_co_u32_e32 v7, vcc, v10, v7, vcc
	v_add_u32_e32 v0, 0x90, v12
	s_waitcnt lgkmcnt(0)
	global_store_dwordx2 v[6:7], v[2:3], off
	v_lshlrev_b64 v[2:3], 3, v[0:1]
	v_add_u32_e32 v0, 0x120, v12
	v_add_co_u32_e32 v2, vcc, v9, v2
	v_addc_co_u32_e32 v3, vcc, v10, v3, vcc
	global_store_dwordx2 v[2:3], v[4:5], off
	v_add_u32_e32 v2, 0x800, v8
	ds_read2_b64 v[2:5], v2 offset0:32 offset1:176
	v_lshlrev_b64 v[6:7], 3, v[0:1]
	v_add_u32_e32 v0, 0x1b0, v12
	v_add_co_u32_e32 v6, vcc, v9, v6
	v_addc_co_u32_e32 v7, vcc, v10, v7, vcc
	s_waitcnt lgkmcnt(0)
	global_store_dwordx2 v[6:7], v[2:3], off
	v_lshlrev_b64 v[2:3], 3, v[0:1]
	v_add_u32_e32 v0, 0x240, v12
	v_add_co_u32_e32 v2, vcc, v9, v2
	v_addc_co_u32_e32 v3, vcc, v10, v3, vcc
	global_store_dwordx2 v[2:3], v[4:5], off
	v_add_u32_e32 v2, 0x1000, v8
	ds_read2_b64 v[2:5], v2 offset0:64 offset1:208
	v_lshlrev_b64 v[6:7], 3, v[0:1]
	v_add_u32_e32 v0, 0x2d0, v12
	v_add_co_u32_e32 v6, vcc, v9, v6
	v_addc_co_u32_e32 v7, vcc, v10, v7, vcc
	;; [unrolled: 13-line block ×3, first 2 shown]
	s_waitcnt lgkmcnt(0)
	global_store_dwordx2 v[6:7], v[2:3], off
	v_lshlrev_b64 v[2:3], 3, v[0:1]
	v_add_u32_e32 v0, 0x480, v12
	v_add_co_u32_e32 v2, vcc, v9, v2
	v_addc_co_u32_e32 v3, vcc, v10, v3, vcc
	global_store_dwordx2 v[2:3], v[4:5], off
	v_add_u32_e32 v2, 0x2400, v8
	ds_read2_b64 v[2:5], v2 offset1:144
	v_lshlrev_b64 v[6:7], 3, v[0:1]
	v_add_u32_e32 v0, 0x510, v12
	v_add_co_u32_e32 v6, vcc, v9, v6
	v_addc_co_u32_e32 v7, vcc, v10, v7, vcc
	s_waitcnt lgkmcnt(0)
	global_store_dwordx2 v[6:7], v[2:3], off
	v_lshlrev_b64 v[2:3], 3, v[0:1]
	v_add_u32_e32 v0, 0x5a0, v12
	v_add_co_u32_e32 v2, vcc, v9, v2
	v_addc_co_u32_e32 v3, vcc, v10, v3, vcc
	global_store_dwordx2 v[2:3], v[4:5], off
	v_add_u32_e32 v2, 0x2c00, v8
	ds_read2_b64 v[2:5], v2 offset0:32 offset1:176
	v_lshlrev_b64 v[6:7], 3, v[0:1]
	v_add_u32_e32 v0, 0x630, v12
	v_add_co_u32_e32 v6, vcc, v9, v6
	v_addc_co_u32_e32 v7, vcc, v10, v7, vcc
	s_waitcnt lgkmcnt(0)
	global_store_dwordx2 v[6:7], v[2:3], off
	v_lshlrev_b64 v[2:3], 3, v[0:1]
	v_add_u32_e32 v0, 0x6c0, v12
	v_add_co_u32_e32 v2, vcc, v9, v2
	v_addc_co_u32_e32 v3, vcc, v10, v3, vcc
	global_store_dwordx2 v[2:3], v[4:5], off
	v_add_u32_e32 v2, 0x3400, v8
	ds_read2_b64 v[2:5], v2 offset0:64 offset1:208
	;; [unrolled: 13-line block ×3, first 2 shown]
	v_lshlrev_b64 v[6:7], 3, v[0:1]
	v_add_u32_e32 v0, 0x870, v12
	v_add_co_u32_e32 v6, vcc, v9, v6
	v_addc_co_u32_e32 v7, vcc, v10, v7, vcc
	s_waitcnt lgkmcnt(0)
	global_store_dwordx2 v[6:7], v[2:3], off
	v_lshlrev_b64 v[2:3], 3, v[0:1]
	v_add_u32_e32 v0, 0x900, v12
	v_add_co_u32_e32 v2, vcc, v9, v2
	v_addc_co_u32_e32 v3, vcc, v10, v3, vcc
	global_store_dwordx2 v[2:3], v[4:5], off
	v_add_u32_e32 v2, 0x4800, v8
	ds_read2_b64 v[2:5], v2 offset1:144
	v_lshlrev_b64 v[6:7], 3, v[0:1]
	v_add_u32_e32 v0, 0x990, v12
	v_add_co_u32_e32 v6, vcc, v9, v6
	v_addc_co_u32_e32 v7, vcc, v10, v7, vcc
	s_waitcnt lgkmcnt(0)
	global_store_dwordx2 v[6:7], v[2:3], off
	v_lshlrev_b64 v[2:3], 3, v[0:1]
	v_add_u32_e32 v0, 0xa20, v12
	v_add_co_u32_e32 v2, vcc, v9, v2
	v_addc_co_u32_e32 v3, vcc, v10, v3, vcc
	global_store_dwordx2 v[2:3], v[4:5], off
	v_add_u32_e32 v2, 0x5000, v8
	ds_read2_b64 v[2:5], v2 offset0:32 offset1:176
	v_lshlrev_b64 v[6:7], 3, v[0:1]
	v_add_u32_e32 v0, 0xab0, v12
	v_add_co_u32_e32 v6, vcc, v9, v6
	v_addc_co_u32_e32 v7, vcc, v10, v7, vcc
	s_waitcnt lgkmcnt(0)
	global_store_dwordx2 v[6:7], v[2:3], off
	v_lshlrev_b64 v[2:3], 3, v[0:1]
	v_add_u32_e32 v0, 0xb40, v12
	v_add_co_u32_e32 v2, vcc, v9, v2
	v_addc_co_u32_e32 v3, vcc, v10, v3, vcc
	global_store_dwordx2 v[2:3], v[4:5], off
	v_add_u32_e32 v2, 0x5800, v8
	ds_read2_b64 v[2:5], v2 offset0:64 offset1:208
	v_lshlrev_b64 v[6:7], 3, v[0:1]
	v_add_u32_e32 v0, 0xbd0, v12
	v_add_co_u32_e32 v6, vcc, v9, v6
	v_addc_co_u32_e32 v7, vcc, v10, v7, vcc
	s_waitcnt lgkmcnt(0)
	global_store_dwordx2 v[6:7], v[2:3], off
	v_lshlrev_b64 v[2:3], 3, v[0:1]
	v_add_u32_e32 v0, 0xc60, v12
	v_add_co_u32_e32 v2, vcc, v9, v2
	v_addc_co_u32_e32 v3, vcc, v10, v3, vcc
	global_store_dwordx2 v[2:3], v[4:5], off
	v_add_u32_e32 v2, 0x6000, v8
	v_lshlrev_b64 v[6:7], 3, v[0:1]
	ds_read2_b64 v[2:5], v2 offset0:96 offset1:240
	v_add_u32_e32 v0, 0xcf0, v12
	v_add_co_u32_e32 v6, vcc, v9, v6
	v_lshlrev_b64 v[0:1], 3, v[0:1]
	v_addc_co_u32_e32 v7, vcc, v10, v7, vcc
	v_add_co_u32_e32 v0, vcc, v9, v0
	v_addc_co_u32_e32 v1, vcc, v10, v1, vcc
	s_waitcnt lgkmcnt(0)
	global_store_dwordx2 v[6:7], v[2:3], off
	global_store_dwordx2 v[0:1], v[4:5], off
.LBB0_19:
	s_endpgm
	.section	.rodata,"a",@progbits
	.p2align	6, 0x0
	.amdhsa_kernel fft_rtc_fwd_len3456_factors_6_6_6_4_4_wgs_144_tpt_144_halfLds_sp_ip_CI_unitstride_sbrr_C2R_dirReg
		.amdhsa_group_segment_fixed_size 0
		.amdhsa_private_segment_fixed_size 0
		.amdhsa_kernarg_size 88
		.amdhsa_user_sgpr_count 6
		.amdhsa_user_sgpr_private_segment_buffer 1
		.amdhsa_user_sgpr_dispatch_ptr 0
		.amdhsa_user_sgpr_queue_ptr 0
		.amdhsa_user_sgpr_kernarg_segment_ptr 1
		.amdhsa_user_sgpr_dispatch_id 0
		.amdhsa_user_sgpr_flat_scratch_init 0
		.amdhsa_user_sgpr_private_segment_size 0
		.amdhsa_uses_dynamic_stack 0
		.amdhsa_system_sgpr_private_segment_wavefront_offset 0
		.amdhsa_system_sgpr_workgroup_id_x 1
		.amdhsa_system_sgpr_workgroup_id_y 0
		.amdhsa_system_sgpr_workgroup_id_z 0
		.amdhsa_system_sgpr_workgroup_info 0
		.amdhsa_system_vgpr_workitem_id 0
		.amdhsa_next_free_vgpr 83
		.amdhsa_next_free_sgpr 22
		.amdhsa_reserve_vcc 1
		.amdhsa_reserve_flat_scratch 0
		.amdhsa_float_round_mode_32 0
		.amdhsa_float_round_mode_16_64 0
		.amdhsa_float_denorm_mode_32 3
		.amdhsa_float_denorm_mode_16_64 3
		.amdhsa_dx10_clamp 1
		.amdhsa_ieee_mode 1
		.amdhsa_fp16_overflow 0
		.amdhsa_exception_fp_ieee_invalid_op 0
		.amdhsa_exception_fp_denorm_src 0
		.amdhsa_exception_fp_ieee_div_zero 0
		.amdhsa_exception_fp_ieee_overflow 0
		.amdhsa_exception_fp_ieee_underflow 0
		.amdhsa_exception_fp_ieee_inexact 0
		.amdhsa_exception_int_div_zero 0
	.end_amdhsa_kernel
	.text
.Lfunc_end0:
	.size	fft_rtc_fwd_len3456_factors_6_6_6_4_4_wgs_144_tpt_144_halfLds_sp_ip_CI_unitstride_sbrr_C2R_dirReg, .Lfunc_end0-fft_rtc_fwd_len3456_factors_6_6_6_4_4_wgs_144_tpt_144_halfLds_sp_ip_CI_unitstride_sbrr_C2R_dirReg
                                        ; -- End function
	.section	.AMDGPU.csdata,"",@progbits
; Kernel info:
; codeLenInByte = 13088
; NumSgprs: 26
; NumVgprs: 83
; ScratchSize: 0
; MemoryBound: 0
; FloatMode: 240
; IeeeMode: 1
; LDSByteSize: 0 bytes/workgroup (compile time only)
; SGPRBlocks: 3
; VGPRBlocks: 20
; NumSGPRsForWavesPerEU: 26
; NumVGPRsForWavesPerEU: 83
; Occupancy: 3
; WaveLimiterHint : 1
; COMPUTE_PGM_RSRC2:SCRATCH_EN: 0
; COMPUTE_PGM_RSRC2:USER_SGPR: 6
; COMPUTE_PGM_RSRC2:TRAP_HANDLER: 0
; COMPUTE_PGM_RSRC2:TGID_X_EN: 1
; COMPUTE_PGM_RSRC2:TGID_Y_EN: 0
; COMPUTE_PGM_RSRC2:TGID_Z_EN: 0
; COMPUTE_PGM_RSRC2:TIDIG_COMP_CNT: 0
	.type	__hip_cuid_21995faf7de25161,@object ; @__hip_cuid_21995faf7de25161
	.section	.bss,"aw",@nobits
	.globl	__hip_cuid_21995faf7de25161
__hip_cuid_21995faf7de25161:
	.byte	0                               ; 0x0
	.size	__hip_cuid_21995faf7de25161, 1

	.ident	"AMD clang version 19.0.0git (https://github.com/RadeonOpenCompute/llvm-project roc-6.4.0 25133 c7fe45cf4b819c5991fe208aaa96edf142730f1d)"
	.section	".note.GNU-stack","",@progbits
	.addrsig
	.addrsig_sym __hip_cuid_21995faf7de25161
	.amdgpu_metadata
---
amdhsa.kernels:
  - .args:
      - .actual_access:  read_only
        .address_space:  global
        .offset:         0
        .size:           8
        .value_kind:     global_buffer
      - .offset:         8
        .size:           8
        .value_kind:     by_value
      - .actual_access:  read_only
        .address_space:  global
        .offset:         16
        .size:           8
        .value_kind:     global_buffer
      - .actual_access:  read_only
        .address_space:  global
        .offset:         24
        .size:           8
        .value_kind:     global_buffer
      - .offset:         32
        .size:           8
        .value_kind:     by_value
      - .actual_access:  read_only
        .address_space:  global
        .offset:         40
        .size:           8
        .value_kind:     global_buffer
      - .actual_access:  read_only
        .address_space:  global
        .offset:         48
        .size:           8
        .value_kind:     global_buffer
      - .offset:         56
        .size:           4
        .value_kind:     by_value
      - .actual_access:  read_only
        .address_space:  global
        .offset:         64
        .size:           8
        .value_kind:     global_buffer
      - .actual_access:  read_only
        .address_space:  global
        .offset:         72
        .size:           8
        .value_kind:     global_buffer
      - .address_space:  global
        .offset:         80
        .size:           8
        .value_kind:     global_buffer
    .group_segment_fixed_size: 0
    .kernarg_segment_align: 8
    .kernarg_segment_size: 88
    .language:       OpenCL C
    .language_version:
      - 2
      - 0
    .max_flat_workgroup_size: 144
    .name:           fft_rtc_fwd_len3456_factors_6_6_6_4_4_wgs_144_tpt_144_halfLds_sp_ip_CI_unitstride_sbrr_C2R_dirReg
    .private_segment_fixed_size: 0
    .sgpr_count:     26
    .sgpr_spill_count: 0
    .symbol:         fft_rtc_fwd_len3456_factors_6_6_6_4_4_wgs_144_tpt_144_halfLds_sp_ip_CI_unitstride_sbrr_C2R_dirReg.kd
    .uniform_work_group_size: 1
    .uses_dynamic_stack: false
    .vgpr_count:     83
    .vgpr_spill_count: 0
    .wavefront_size: 64
amdhsa.target:   amdgcn-amd-amdhsa--gfx906
amdhsa.version:
  - 1
  - 2
...

	.end_amdgpu_metadata
